;; amdgpu-corpus repo=ROCm/rocFFT kind=compiled arch=gfx1201 opt=O3
	.text
	.amdgcn_target "amdgcn-amd-amdhsa--gfx1201"
	.amdhsa_code_object_version 6
	.protected	fft_rtc_back_len1728_factors_3_6_6_16_wgs_108_tpt_108_halfLds_half_op_CI_CI_unitstride_sbrr_C2R_dirReg ; -- Begin function fft_rtc_back_len1728_factors_3_6_6_16_wgs_108_tpt_108_halfLds_half_op_CI_CI_unitstride_sbrr_C2R_dirReg
	.globl	fft_rtc_back_len1728_factors_3_6_6_16_wgs_108_tpt_108_halfLds_half_op_CI_CI_unitstride_sbrr_C2R_dirReg
	.p2align	8
	.type	fft_rtc_back_len1728_factors_3_6_6_16_wgs_108_tpt_108_halfLds_half_op_CI_CI_unitstride_sbrr_C2R_dirReg,@function
fft_rtc_back_len1728_factors_3_6_6_16_wgs_108_tpt_108_halfLds_half_op_CI_CI_unitstride_sbrr_C2R_dirReg: ; @fft_rtc_back_len1728_factors_3_6_6_16_wgs_108_tpt_108_halfLds_half_op_CI_CI_unitstride_sbrr_C2R_dirReg
; %bb.0:
	s_clause 0x2
	s_load_b128 s[8:11], s[0:1], 0x0
	s_load_b128 s[4:7], s[0:1], 0x58
	;; [unrolled: 1-line block ×3, first 2 shown]
	v_mul_u32_u24_e32 v1, 0x25f, v0
	v_mov_b32_e32 v3, 0
	v_mov_b32_e32 v7, 0
	;; [unrolled: 1-line block ×3, first 2 shown]
	s_delay_alu instid0(VALU_DEP_4) | instskip(NEXT) | instid1(VALU_DEP_1)
	v_lshrrev_b32_e32 v1, 16, v1
	v_dual_mov_b32 v10, v3 :: v_dual_add_nc_u32 v9, ttmp9, v1
	s_wait_kmcnt 0x0
	v_cmp_lt_u64_e64 s2, s[10:11], 2
	s_delay_alu instid0(VALU_DEP_1)
	s_and_b32 vcc_lo, exec_lo, s2
	s_cbranch_vccnz .LBB0_8
; %bb.1:
	s_load_b64 s[2:3], s[0:1], 0x10
	v_mov_b32_e32 v7, 0
	v_mov_b32_e32 v8, 0
	s_delay_alu instid0(VALU_DEP_2)
	v_mov_b32_e32 v1, v7
	s_add_nc_u64 s[16:17], s[14:15], 8
	s_add_nc_u64 s[18:19], s[12:13], 8
	s_mov_b64 s[20:21], 1
	v_mov_b32_e32 v2, v8
	s_wait_kmcnt 0x0
	s_add_nc_u64 s[22:23], s[2:3], 8
	s_mov_b32 s3, 0
.LBB0_2:                                ; =>This Inner Loop Header: Depth=1
	s_load_b64 s[24:25], s[22:23], 0x0
                                        ; implicit-def: $vgpr5_vgpr6
	s_mov_b32 s2, exec_lo
	s_wait_kmcnt 0x0
	v_or_b32_e32 v4, s25, v10
	s_delay_alu instid0(VALU_DEP_1)
	v_cmpx_ne_u64_e32 0, v[3:4]
	s_wait_alu 0xfffe
	s_xor_b32 s26, exec_lo, s2
	s_cbranch_execz .LBB0_4
; %bb.3:                                ;   in Loop: Header=BB0_2 Depth=1
	s_cvt_f32_u32 s2, s24
	s_cvt_f32_u32 s27, s25
	s_sub_nc_u64 s[30:31], 0, s[24:25]
	s_wait_alu 0xfffe
	s_delay_alu instid0(SALU_CYCLE_1) | instskip(SKIP_1) | instid1(SALU_CYCLE_2)
	s_fmamk_f32 s2, s27, 0x4f800000, s2
	s_wait_alu 0xfffe
	v_s_rcp_f32 s2, s2
	s_delay_alu instid0(TRANS32_DEP_1) | instskip(SKIP_1) | instid1(SALU_CYCLE_2)
	s_mul_f32 s2, s2, 0x5f7ffffc
	s_wait_alu 0xfffe
	s_mul_f32 s27, s2, 0x2f800000
	s_wait_alu 0xfffe
	s_delay_alu instid0(SALU_CYCLE_2) | instskip(SKIP_1) | instid1(SALU_CYCLE_2)
	s_trunc_f32 s27, s27
	s_wait_alu 0xfffe
	s_fmamk_f32 s2, s27, 0xcf800000, s2
	s_cvt_u32_f32 s29, s27
	s_wait_alu 0xfffe
	s_delay_alu instid0(SALU_CYCLE_1) | instskip(SKIP_1) | instid1(SALU_CYCLE_2)
	s_cvt_u32_f32 s28, s2
	s_wait_alu 0xfffe
	s_mul_u64 s[34:35], s[30:31], s[28:29]
	s_wait_alu 0xfffe
	s_mul_hi_u32 s37, s28, s35
	s_mul_i32 s36, s28, s35
	s_mul_hi_u32 s2, s28, s34
	s_mul_i32 s33, s29, s34
	s_wait_alu 0xfffe
	s_add_nc_u64 s[36:37], s[2:3], s[36:37]
	s_mul_hi_u32 s27, s29, s34
	s_mul_hi_u32 s38, s29, s35
	s_add_co_u32 s2, s36, s33
	s_wait_alu 0xfffe
	s_add_co_ci_u32 s2, s37, s27
	s_mul_i32 s34, s29, s35
	s_add_co_ci_u32 s35, s38, 0
	s_wait_alu 0xfffe
	s_add_nc_u64 s[34:35], s[2:3], s[34:35]
	s_wait_alu 0xfffe
	v_add_co_u32 v4, s2, s28, s34
	s_delay_alu instid0(VALU_DEP_1) | instskip(SKIP_1) | instid1(VALU_DEP_1)
	s_cmp_lg_u32 s2, 0
	s_add_co_ci_u32 s29, s29, s35
	v_readfirstlane_b32 s28, v4
	s_wait_alu 0xfffe
	s_delay_alu instid0(VALU_DEP_1)
	s_mul_u64 s[30:31], s[30:31], s[28:29]
	s_wait_alu 0xfffe
	s_mul_hi_u32 s35, s28, s31
	s_mul_i32 s34, s28, s31
	s_mul_hi_u32 s2, s28, s30
	s_mul_i32 s33, s29, s30
	s_wait_alu 0xfffe
	s_add_nc_u64 s[34:35], s[2:3], s[34:35]
	s_mul_hi_u32 s27, s29, s30
	s_mul_hi_u32 s28, s29, s31
	s_wait_alu 0xfffe
	s_add_co_u32 s2, s34, s33
	s_add_co_ci_u32 s2, s35, s27
	s_mul_i32 s30, s29, s31
	s_add_co_ci_u32 s31, s28, 0
	s_wait_alu 0xfffe
	s_add_nc_u64 s[30:31], s[2:3], s[30:31]
	s_wait_alu 0xfffe
	v_add_co_u32 v6, s2, v4, s30
	s_delay_alu instid0(VALU_DEP_1) | instskip(SKIP_1) | instid1(VALU_DEP_1)
	s_cmp_lg_u32 s2, 0
	s_add_co_ci_u32 s2, s29, s31
	v_mul_hi_u32 v15, v9, v6
	s_wait_alu 0xfffe
	v_mad_co_u64_u32 v[4:5], null, v9, s2, 0
	v_mad_co_u64_u32 v[11:12], null, v10, v6, 0
	;; [unrolled: 1-line block ×3, first 2 shown]
	s_delay_alu instid0(VALU_DEP_3) | instskip(SKIP_1) | instid1(VALU_DEP_4)
	v_add_co_u32 v4, vcc_lo, v15, v4
	s_wait_alu 0xfffd
	v_add_co_ci_u32_e32 v5, vcc_lo, 0, v5, vcc_lo
	s_delay_alu instid0(VALU_DEP_2) | instskip(SKIP_1) | instid1(VALU_DEP_2)
	v_add_co_u32 v4, vcc_lo, v4, v11
	s_wait_alu 0xfffd
	v_add_co_ci_u32_e32 v4, vcc_lo, v5, v12, vcc_lo
	s_wait_alu 0xfffd
	v_add_co_ci_u32_e32 v5, vcc_lo, 0, v14, vcc_lo
	s_delay_alu instid0(VALU_DEP_2) | instskip(SKIP_1) | instid1(VALU_DEP_2)
	v_add_co_u32 v11, vcc_lo, v4, v13
	s_wait_alu 0xfffd
	v_add_co_ci_u32_e32 v6, vcc_lo, 0, v5, vcc_lo
	s_delay_alu instid0(VALU_DEP_2) | instskip(SKIP_1) | instid1(VALU_DEP_3)
	v_mul_lo_u32 v12, s25, v11
	v_mad_co_u64_u32 v[4:5], null, s24, v11, 0
	v_mul_lo_u32 v13, s24, v6
	s_delay_alu instid0(VALU_DEP_2) | instskip(NEXT) | instid1(VALU_DEP_2)
	v_sub_co_u32 v4, vcc_lo, v9, v4
	v_add3_u32 v5, v5, v13, v12
	s_delay_alu instid0(VALU_DEP_1) | instskip(SKIP_1) | instid1(VALU_DEP_1)
	v_sub_nc_u32_e32 v12, v10, v5
	s_wait_alu 0xfffd
	v_subrev_co_ci_u32_e64 v12, s2, s25, v12, vcc_lo
	v_add_co_u32 v13, s2, v11, 2
	s_wait_alu 0xf1ff
	v_add_co_ci_u32_e64 v14, s2, 0, v6, s2
	v_sub_co_u32 v15, s2, v4, s24
	v_sub_co_ci_u32_e32 v5, vcc_lo, v10, v5, vcc_lo
	s_wait_alu 0xf1ff
	v_subrev_co_ci_u32_e64 v12, s2, 0, v12, s2
	s_delay_alu instid0(VALU_DEP_3) | instskip(NEXT) | instid1(VALU_DEP_3)
	v_cmp_le_u32_e32 vcc_lo, s24, v15
	v_cmp_eq_u32_e64 s2, s25, v5
	s_wait_alu 0xfffd
	v_cndmask_b32_e64 v15, 0, -1, vcc_lo
	v_cmp_le_u32_e32 vcc_lo, s25, v12
	s_wait_alu 0xfffd
	v_cndmask_b32_e64 v16, 0, -1, vcc_lo
	v_cmp_le_u32_e32 vcc_lo, s24, v4
	;; [unrolled: 3-line block ×3, first 2 shown]
	s_wait_alu 0xfffd
	v_cndmask_b32_e64 v17, 0, -1, vcc_lo
	v_cmp_eq_u32_e32 vcc_lo, s25, v12
	s_wait_alu 0xf1ff
	s_delay_alu instid0(VALU_DEP_2)
	v_cndmask_b32_e64 v4, v17, v4, s2
	s_wait_alu 0xfffd
	v_cndmask_b32_e32 v12, v16, v15, vcc_lo
	v_add_co_u32 v15, vcc_lo, v11, 1
	s_wait_alu 0xfffd
	v_add_co_ci_u32_e32 v16, vcc_lo, 0, v6, vcc_lo
	s_delay_alu instid0(VALU_DEP_3) | instskip(SKIP_1) | instid1(VALU_DEP_2)
	v_cmp_ne_u32_e32 vcc_lo, 0, v12
	s_wait_alu 0xfffd
	v_dual_cndmask_b32 v5, v16, v14 :: v_dual_cndmask_b32 v12, v15, v13
	v_cmp_ne_u32_e32 vcc_lo, 0, v4
	s_wait_alu 0xfffd
	s_delay_alu instid0(VALU_DEP_2)
	v_dual_cndmask_b32 v6, v6, v5 :: v_dual_cndmask_b32 v5, v11, v12
.LBB0_4:                                ;   in Loop: Header=BB0_2 Depth=1
	s_wait_alu 0xfffe
	s_and_not1_saveexec_b32 s2, s26
	s_cbranch_execz .LBB0_6
; %bb.5:                                ;   in Loop: Header=BB0_2 Depth=1
	v_cvt_f32_u32_e32 v4, s24
	s_sub_co_i32 s26, 0, s24
	s_delay_alu instid0(VALU_DEP_1) | instskip(NEXT) | instid1(TRANS32_DEP_1)
	v_rcp_iflag_f32_e32 v4, v4
	v_mul_f32_e32 v4, 0x4f7ffffe, v4
	s_delay_alu instid0(VALU_DEP_1) | instskip(SKIP_1) | instid1(VALU_DEP_1)
	v_cvt_u32_f32_e32 v4, v4
	s_wait_alu 0xfffe
	v_mul_lo_u32 v5, s26, v4
	s_delay_alu instid0(VALU_DEP_1) | instskip(NEXT) | instid1(VALU_DEP_1)
	v_mul_hi_u32 v5, v4, v5
	v_add_nc_u32_e32 v4, v4, v5
	s_delay_alu instid0(VALU_DEP_1) | instskip(NEXT) | instid1(VALU_DEP_1)
	v_mul_hi_u32 v4, v9, v4
	v_mul_lo_u32 v5, v4, s24
	v_add_nc_u32_e32 v6, 1, v4
	s_delay_alu instid0(VALU_DEP_2) | instskip(NEXT) | instid1(VALU_DEP_1)
	v_sub_nc_u32_e32 v5, v9, v5
	v_subrev_nc_u32_e32 v11, s24, v5
	v_cmp_le_u32_e32 vcc_lo, s24, v5
	s_wait_alu 0xfffd
	s_delay_alu instid0(VALU_DEP_2) | instskip(NEXT) | instid1(VALU_DEP_1)
	v_dual_cndmask_b32 v5, v5, v11 :: v_dual_cndmask_b32 v4, v4, v6
	v_cmp_le_u32_e32 vcc_lo, s24, v5
	s_delay_alu instid0(VALU_DEP_2) | instskip(SKIP_1) | instid1(VALU_DEP_1)
	v_add_nc_u32_e32 v6, 1, v4
	s_wait_alu 0xfffd
	v_dual_cndmask_b32 v5, v4, v6 :: v_dual_mov_b32 v6, v3
.LBB0_6:                                ;   in Loop: Header=BB0_2 Depth=1
	s_wait_alu 0xfffe
	s_or_b32 exec_lo, exec_lo, s2
	s_delay_alu instid0(VALU_DEP_1) | instskip(NEXT) | instid1(VALU_DEP_2)
	v_mul_lo_u32 v4, v6, s24
	v_mul_lo_u32 v13, v5, s25
	s_load_b64 s[26:27], s[18:19], 0x0
	v_mad_co_u64_u32 v[11:12], null, v5, s24, 0
	s_load_b64 s[24:25], s[16:17], 0x0
	s_add_nc_u64 s[20:21], s[20:21], 1
	s_add_nc_u64 s[16:17], s[16:17], 8
	s_wait_alu 0xfffe
	v_cmp_ge_u64_e64 s2, s[20:21], s[10:11]
	s_add_nc_u64 s[18:19], s[18:19], 8
	s_add_nc_u64 s[22:23], s[22:23], 8
	v_add3_u32 v4, v12, v13, v4
	v_sub_co_u32 v9, vcc_lo, v9, v11
	s_wait_alu 0xfffd
	s_delay_alu instid0(VALU_DEP_2) | instskip(SKIP_2) | instid1(VALU_DEP_1)
	v_sub_co_ci_u32_e32 v4, vcc_lo, v10, v4, vcc_lo
	s_and_b32 vcc_lo, exec_lo, s2
	s_wait_kmcnt 0x0
	v_mul_lo_u32 v10, s26, v4
	v_mul_lo_u32 v11, s27, v9
	v_mad_co_u64_u32 v[7:8], null, s26, v9, v[7:8]
	v_mul_lo_u32 v4, s24, v4
	v_mul_lo_u32 v12, s25, v9
	v_mad_co_u64_u32 v[1:2], null, s24, v9, v[1:2]
	s_delay_alu instid0(VALU_DEP_4) | instskip(NEXT) | instid1(VALU_DEP_2)
	v_add3_u32 v8, v11, v8, v10
	v_add3_u32 v2, v12, v2, v4
	s_wait_alu 0xfffe
	s_cbranch_vccnz .LBB0_9
; %bb.7:                                ;   in Loop: Header=BB0_2 Depth=1
	v_dual_mov_b32 v10, v6 :: v_dual_mov_b32 v9, v5
	s_branch .LBB0_2
.LBB0_8:
	v_dual_mov_b32 v1, v7 :: v_dual_mov_b32 v2, v8
	v_dual_mov_b32 v5, v9 :: v_dual_mov_b32 v6, v10
.LBB0_9:
	s_load_b64 s[0:1], s[0:1], 0x28
	v_mul_hi_u32 v4, 0x25ed098, v0
	s_lshl_b64 s[10:11], s[10:11], 3
                                        ; implicit-def: $vgpr3
	s_wait_alu 0xfffe
	s_add_nc_u64 s[2:3], s[14:15], s[10:11]
	s_wait_kmcnt 0x0
	v_cmp_gt_u64_e32 vcc_lo, s[0:1], v[5:6]
	v_cmp_le_u64_e64 s0, s[0:1], v[5:6]
	s_delay_alu instid0(VALU_DEP_1)
	s_and_saveexec_b32 s1, s0
	s_wait_alu 0xfffe
	s_xor_b32 s0, exec_lo, s1
; %bb.10:
	v_mul_u32_u24_e32 v3, 0x6c, v4
                                        ; implicit-def: $vgpr4
                                        ; implicit-def: $vgpr7_vgpr8
	s_delay_alu instid0(VALU_DEP_1)
	v_sub_nc_u32_e32 v3, v0, v3
                                        ; implicit-def: $vgpr0
; %bb.11:
	s_wait_alu 0xfffe
	s_or_saveexec_b32 s1, s0
	s_load_b64 s[2:3], s[2:3], 0x0
	s_xor_b32 exec_lo, exec_lo, s1
	s_cbranch_execz .LBB0_15
; %bb.12:
	s_add_nc_u64 s[10:11], s[12:13], s[10:11]
	v_lshlrev_b64_e32 v[7:8], 2, v[7:8]
	s_load_b64 s[10:11], s[10:11], 0x0
	s_wait_kmcnt 0x0
	v_mul_lo_u32 v3, s11, v5
	v_mul_lo_u32 v11, s10, v6
	v_mad_co_u64_u32 v[9:10], null, s10, v5, 0
	s_delay_alu instid0(VALU_DEP_1) | instskip(SKIP_1) | instid1(VALU_DEP_2)
	v_add3_u32 v10, v10, v11, v3
	v_mul_u32_u24_e32 v3, 0x6c, v4
	v_lshlrev_b64_e32 v[9:10], 2, v[9:10]
	s_delay_alu instid0(VALU_DEP_2) | instskip(NEXT) | instid1(VALU_DEP_1)
	v_sub_nc_u32_e32 v3, v0, v3
	v_lshlrev_b32_e32 v11, 2, v3
	s_delay_alu instid0(VALU_DEP_3) | instskip(SKIP_1) | instid1(VALU_DEP_4)
	v_add_co_u32 v0, s0, s4, v9
	s_wait_alu 0xf1ff
	v_add_co_ci_u32_e64 v4, s0, s5, v10, s0
	s_mov_b32 s4, exec_lo
	s_delay_alu instid0(VALU_DEP_2) | instskip(SKIP_1) | instid1(VALU_DEP_2)
	v_add_co_u32 v7, s0, v0, v7
	s_wait_alu 0xf1ff
	v_add_co_ci_u32_e64 v8, s0, v4, v8, s0
	s_delay_alu instid0(VALU_DEP_2) | instskip(SKIP_1) | instid1(VALU_DEP_2)
	v_add_co_u32 v9, s0, v7, v11
	s_wait_alu 0xf1ff
	v_add_co_ci_u32_e64 v10, s0, 0, v8, s0
	s_clause 0xf
	global_load_b32 v0, v[9:10], off
	global_load_b32 v4, v[9:10], off offset:432
	global_load_b32 v12, v[9:10], off offset:864
	;; [unrolled: 1-line block ×15, first 2 shown]
	v_add_nc_u32_e32 v10, 0, v11
	s_delay_alu instid0(VALU_DEP_1)
	v_add_nc_u32_e32 v11, 0x200, v10
	v_add_nc_u32_e32 v25, 0x600, v10
	;; [unrolled: 1-line block ×7, first 2 shown]
	s_wait_loadcnt 0xe
	ds_store_2addr_b32 v10, v0, v4 offset1:108
	s_wait_loadcnt 0xc
	ds_store_2addr_b32 v11, v12, v13 offset0:88 offset1:196
	s_wait_loadcnt 0xa
	ds_store_2addr_b32 v25, v14, v15 offset0:48 offset1:156
	;; [unrolled: 2-line block ×7, first 2 shown]
	v_cmpx_eq_u32_e32 0x6b, v3
	s_cbranch_execz .LBB0_14
; %bb.13:
	global_load_b32 v0, v[7:8], off offset:6912
	v_dual_mov_b32 v4, 0 :: v_dual_mov_b32 v3, 0x6b
	s_wait_loadcnt 0x0
	ds_store_b32 v4, v0 offset:6912
.LBB0_14:
	s_wait_alu 0xfffe
	s_or_b32 exec_lo, exec_lo, s4
.LBB0_15:
	s_delay_alu instid0(SALU_CYCLE_1)
	s_or_b32 exec_lo, exec_lo, s1
	v_lshlrev_b32_e32 v4, 2, v3
	global_wb scope:SCOPE_SE
	s_wait_dscnt 0x0
	s_wait_kmcnt 0x0
	s_barrier_signal -1
	s_barrier_wait -1
	global_inv scope:SCOPE_SE
	v_add_nc_u32_e32 v0, 0, v4
	v_sub_nc_u32_e32 v9, 0, v4
	s_mov_b32 s1, exec_lo
                                        ; implicit-def: $vgpr7_vgpr8
	ds_load_u16 v12, v0
	ds_load_u16 v13, v9 offset:6912
	s_wait_dscnt 0x0
	v_add_f16_e32 v11, v13, v12
	v_sub_f16_e32 v10, v12, v13
	v_cmpx_ne_u32_e32 0, v3
	s_wait_alu 0xfffe
	s_xor_b32 s1, exec_lo, s1
	s_cbranch_execz .LBB0_17
; %bb.16:
	v_mov_b32_e32 v4, 0
	v_add_f16_e32 v11, v13, v12
	v_sub_f16_e32 v12, v12, v13
	s_delay_alu instid0(VALU_DEP_3) | instskip(NEXT) | instid1(VALU_DEP_1)
	v_lshlrev_b64_e32 v[7:8], 2, v[3:4]
	v_add_co_u32 v7, s0, s8, v7
	s_wait_alu 0xf1ff
	s_delay_alu instid0(VALU_DEP_2)
	v_add_co_ci_u32_e64 v8, s0, s9, v8, s0
	global_load_b32 v7, v[7:8], off offset:6900
	ds_load_u16 v8, v9 offset:6914
	ds_load_u16 v10, v0 offset:2
	s_wait_dscnt 0x0
	v_add_f16_e32 v13, v8, v10
	v_sub_f16_e32 v8, v10, v8
	s_wait_loadcnt 0x0
	v_lshrrev_b32_e32 v14, 16, v7
	s_delay_alu instid0(VALU_DEP_1) | instskip(NEXT) | instid1(VALU_DEP_3)
	v_fma_f16 v15, -v12, v14, v11
	v_fma_f16 v16, v13, v14, -v8
	v_fma_f16 v10, v13, v14, v8
	v_fma_f16 v11, v12, v14, v11
	s_delay_alu instid0(VALU_DEP_4) | instskip(NEXT) | instid1(VALU_DEP_4)
	v_fmac_f16_e32 v15, v7, v13
	v_fmac_f16_e32 v16, v12, v7
	s_delay_alu instid0(VALU_DEP_4) | instskip(NEXT) | instid1(VALU_DEP_4)
	v_fmac_f16_e32 v10, v12, v7
	v_fma_f16 v11, -v7, v13, v11
	v_dual_mov_b32 v8, v4 :: v_dual_mov_b32 v7, v3
	s_delay_alu instid0(VALU_DEP_4)
	v_pack_b32_f16 v12, v15, v16
	ds_store_b32 v9, v12 offset:6912
.LBB0_17:
	s_wait_alu 0xfffe
	s_and_not1_saveexec_b32 s0, s1
	s_cbranch_execz .LBB0_19
; %bb.18:
	v_mov_b32_e32 v4, 0
	ds_load_b32 v7, v4 offset:3456
	s_wait_dscnt 0x0
	v_pk_mul_f16 v12, 0xc0004000, v7
	v_mov_b32_e32 v7, 0
	v_mov_b32_e32 v8, 0
	ds_store_b32 v4, v12 offset:3456
.LBB0_19:
	s_wait_alu 0xfffe
	s_or_b32 exec_lo, exec_lo, s0
	v_lshlrev_b64_e32 v[7:8], 2, v[7:8]
	s_add_nc_u64 s[0:1], s[8:9], 0x1af4
	v_perm_b32 v10, v10, v11, 0x5040100
	v_add_nc_u32_e32 v23, 0x1400, v0
	s_wait_alu 0xfffe
	s_delay_alu instid0(VALU_DEP_3)
	v_add_co_u32 v7, s0, s0, v7
	s_wait_alu 0xf1ff
	v_add_co_ci_u32_e64 v8, s0, s1, v8, s0
	v_cmp_gt_u32_e64 s0, 36, v3
	s_clause 0x6
	global_load_b32 v4, v[7:8], off offset:432
	global_load_b32 v12, v[7:8], off offset:864
	;; [unrolled: 1-line block ×7, first 2 shown]
	ds_store_b32 v0, v10
	ds_load_b32 v8, v0 offset:432
	ds_load_b32 v10, v9 offset:6480
	s_wait_dscnt 0x1
	v_lshrrev_b32_e32 v11, 16, v8
	s_wait_dscnt 0x0
	v_lshrrev_b32_e32 v17, 16, v10
	v_add_f16_e32 v18, v8, v10
	v_sub_f16_e32 v8, v8, v10
	s_delay_alu instid0(VALU_DEP_3) | instskip(SKIP_3) | instid1(VALU_DEP_1)
	v_add_f16_e32 v10, v17, v11
	v_sub_f16_e32 v11, v11, v17
	s_wait_loadcnt 0x6
	v_lshrrev_b32_e32 v19, 16, v4
	v_fma_f16 v17, v8, v19, v18
	s_delay_alu instid0(VALU_DEP_3) | instskip(SKIP_2) | instid1(VALU_DEP_4)
	v_fma_f16 v20, v10, v19, v11
	v_fma_f16 v18, -v8, v19, v18
	v_fma_f16 v11, v10, v19, -v11
	v_fma_f16 v17, -v4, v10, v17
	s_delay_alu instid0(VALU_DEP_4) | instskip(NEXT) | instid1(VALU_DEP_4)
	v_fmac_f16_e32 v20, v8, v4
	v_fmac_f16_e32 v18, v4, v10
	s_delay_alu instid0(VALU_DEP_4) | instskip(NEXT) | instid1(VALU_DEP_3)
	v_fmac_f16_e32 v11, v8, v4
	v_pack_b32_f16 v4, v17, v20
	s_wait_loadcnt 0x5
	v_lshrrev_b32_e32 v17, 16, v12
	s_delay_alu instid0(VALU_DEP_3)
	v_pack_b32_f16 v8, v18, v11
	ds_store_b32 v0, v4 offset:432
	ds_store_b32 v9, v8 offset:6480
	ds_load_b32 v4, v0 offset:864
	ds_load_b32 v8, v9 offset:6048
	s_wait_dscnt 0x1
	v_lshrrev_b32_e32 v10, 16, v4
	s_wait_dscnt 0x0
	v_lshrrev_b32_e32 v11, 16, v8
	v_add_f16_e32 v18, v4, v8
	v_sub_f16_e32 v4, v4, v8
	s_delay_alu instid0(VALU_DEP_3) | instskip(SKIP_1) | instid1(VALU_DEP_3)
	v_add_f16_e32 v8, v11, v10
	v_sub_f16_e32 v10, v10, v11
	v_fma_f16 v11, v4, v17, v18
	v_fma_f16 v18, -v4, v17, v18
	s_delay_alu instid0(VALU_DEP_3) | instskip(SKIP_1) | instid1(VALU_DEP_4)
	v_fma_f16 v19, v8, v17, v10
	v_fma_f16 v10, v8, v17, -v10
	v_fma_f16 v11, -v12, v8, v11
	s_delay_alu instid0(VALU_DEP_4) | instskip(NEXT) | instid1(VALU_DEP_4)
	v_fmac_f16_e32 v18, v12, v8
	v_fmac_f16_e32 v19, v4, v12
	s_delay_alu instid0(VALU_DEP_4) | instskip(SKIP_2) | instid1(VALU_DEP_3)
	v_fmac_f16_e32 v10, v4, v12
	s_wait_loadcnt 0x4
	v_lshrrev_b32_e32 v12, 16, v13
	v_pack_b32_f16 v4, v11, v19
	s_delay_alu instid0(VALU_DEP_3)
	v_pack_b32_f16 v8, v18, v10
	ds_store_b32 v0, v4 offset:864
	ds_store_b32 v9, v8 offset:6048
	ds_load_b32 v4, v0 offset:1296
	ds_load_b32 v8, v9 offset:5616
	s_wait_dscnt 0x1
	v_lshrrev_b32_e32 v10, 16, v4
	s_wait_dscnt 0x0
	v_lshrrev_b32_e32 v11, 16, v8
	v_add_f16_e32 v17, v4, v8
	v_sub_f16_e32 v4, v4, v8
	s_delay_alu instid0(VALU_DEP_3) | instskip(SKIP_1) | instid1(VALU_DEP_3)
	v_add_f16_e32 v8, v11, v10
	v_sub_f16_e32 v10, v10, v11
	v_fma_f16 v11, v4, v12, v17
	v_fma_f16 v17, -v4, v12, v17
	s_delay_alu instid0(VALU_DEP_3) | instskip(SKIP_1) | instid1(VALU_DEP_4)
	v_fma_f16 v18, v8, v12, v10
	v_fma_f16 v10, v8, v12, -v10
	v_fma_f16 v11, -v13, v8, v11
	s_delay_alu instid0(VALU_DEP_4) | instskip(SKIP_4) | instid1(VALU_DEP_2)
	v_fmac_f16_e32 v17, v13, v8
	s_wait_loadcnt 0x3
	v_lshrrev_b32_e32 v12, 16, v14
	v_fmac_f16_e32 v18, v4, v13
	v_fmac_f16_e32 v10, v4, v13
	v_pack_b32_f16 v4, v11, v18
	s_delay_alu instid0(VALU_DEP_2)
	v_pack_b32_f16 v8, v17, v10
	ds_store_b32 v0, v4 offset:1296
	ds_store_b32 v9, v8 offset:5616
	ds_load_b32 v4, v0 offset:1728
	ds_load_b32 v8, v9 offset:5184
	s_wait_dscnt 0x1
	v_lshrrev_b32_e32 v10, 16, v4
	s_wait_dscnt 0x0
	v_lshrrev_b32_e32 v11, 16, v8
	v_add_f16_e32 v13, v4, v8
	v_sub_f16_e32 v4, v4, v8
	s_delay_alu instid0(VALU_DEP_3) | instskip(SKIP_1) | instid1(VALU_DEP_3)
	v_add_f16_e32 v8, v11, v10
	v_sub_f16_e32 v10, v10, v11
	v_fma_f16 v11, v4, v12, v13
	v_fma_f16 v13, -v4, v12, v13
	s_delay_alu instid0(VALU_DEP_3) | instskip(SKIP_1) | instid1(VALU_DEP_4)
	v_fma_f16 v17, v8, v12, v10
	v_fma_f16 v10, v8, v12, -v10
	v_fma_f16 v11, -v14, v8, v11
	s_delay_alu instid0(VALU_DEP_4) | instskip(SKIP_4) | instid1(VALU_DEP_2)
	v_fmac_f16_e32 v13, v14, v8
	s_wait_loadcnt 0x2
	v_lshrrev_b32_e32 v12, 16, v15
	v_fmac_f16_e32 v17, v4, v14
	v_fmac_f16_e32 v10, v4, v14
	v_pack_b32_f16 v4, v11, v17
	s_delay_alu instid0(VALU_DEP_2)
	v_pack_b32_f16 v8, v13, v10
	ds_store_b32 v0, v4 offset:1728
	ds_store_b32 v9, v8 offset:5184
	ds_load_b32 v4, v0 offset:2160
	ds_load_b32 v8, v9 offset:4752
	s_wait_dscnt 0x1
	v_lshrrev_b32_e32 v10, 16, v4
	s_wait_dscnt 0x0
	v_lshrrev_b32_e32 v11, 16, v8
	v_add_f16_e32 v13, v4, v8
	v_sub_f16_e32 v4, v4, v8
	s_delay_alu instid0(VALU_DEP_3) | instskip(SKIP_1) | instid1(VALU_DEP_3)
	v_add_f16_e32 v8, v11, v10
	v_sub_f16_e32 v10, v10, v11
	v_fma_f16 v11, v4, v12, v13
	v_fma_f16 v13, -v4, v12, v13
	s_delay_alu instid0(VALU_DEP_3) | instskip(SKIP_1) | instid1(VALU_DEP_4)
	v_fma_f16 v14, v8, v12, v10
	v_fma_f16 v10, v8, v12, -v10
	v_fma_f16 v11, -v15, v8, v11
	s_delay_alu instid0(VALU_DEP_4)
	v_fmac_f16_e32 v13, v15, v8
	s_wait_loadcnt 0x1
	v_lshrrev_b32_e32 v12, 16, v16
	v_fmac_f16_e32 v14, v4, v15
	v_fmac_f16_e32 v10, v4, v15
	v_add_nc_u32_e32 v15, 0xe00, v0
	s_delay_alu instid0(VALU_DEP_3) | instskip(NEXT) | instid1(VALU_DEP_3)
	v_pack_b32_f16 v4, v11, v14
	v_pack_b32_f16 v8, v13, v10
	ds_store_b32 v0, v4 offset:2160
	ds_store_b32 v9, v8 offset:4752
	ds_load_b32 v4, v0 offset:2592
	ds_load_b32 v8, v9 offset:4320
	s_wait_dscnt 0x1
	v_lshrrev_b32_e32 v10, 16, v4
	s_wait_dscnt 0x0
	v_lshrrev_b32_e32 v11, 16, v8
	v_add_f16_e32 v13, v4, v8
	v_sub_f16_e32 v4, v4, v8
	s_delay_alu instid0(VALU_DEP_3) | instskip(SKIP_1) | instid1(VALU_DEP_3)
	v_add_f16_e32 v8, v11, v10
	v_sub_f16_e32 v10, v10, v11
	v_fma_f16 v11, v4, v12, v13
	v_fma_f16 v13, -v4, v12, v13
	s_delay_alu instid0(VALU_DEP_3) | instskip(SKIP_1) | instid1(VALU_DEP_4)
	v_fma_f16 v14, v8, v12, v10
	v_fma_f16 v10, v8, v12, -v10
	v_fma_f16 v11, -v16, v8, v11
	s_delay_alu instid0(VALU_DEP_4)
	v_fmac_f16_e32 v13, v16, v8
	s_wait_loadcnt 0x0
	v_lshrrev_b32_e32 v12, 16, v7
	v_fmac_f16_e32 v14, v4, v16
	v_fmac_f16_e32 v10, v4, v16
	v_add_nc_u32_e32 v16, 0x1800, v0
	s_delay_alu instid0(VALU_DEP_3) | instskip(NEXT) | instid1(VALU_DEP_3)
	v_pack_b32_f16 v4, v11, v14
	v_pack_b32_f16 v8, v13, v10
	ds_store_b32 v0, v4 offset:2592
	ds_store_b32 v9, v8 offset:4320
	ds_load_b32 v4, v0 offset:3024
	ds_load_b32 v8, v9 offset:3888
	s_wait_dscnt 0x1
	v_lshrrev_b32_e32 v10, 16, v4
	s_wait_dscnt 0x0
	v_lshrrev_b32_e32 v11, 16, v8
	v_add_f16_e32 v13, v4, v8
	v_sub_f16_e32 v4, v4, v8
	s_delay_alu instid0(VALU_DEP_3) | instskip(SKIP_1) | instid1(VALU_DEP_3)
	v_add_f16_e32 v8, v11, v10
	v_sub_f16_e32 v10, v10, v11
	v_fma_f16 v11, v4, v12, v13
	v_fma_f16 v13, -v4, v12, v13
	s_delay_alu instid0(VALU_DEP_3) | instskip(SKIP_1) | instid1(VALU_DEP_4)
	v_fma_f16 v14, v8, v12, v10
	v_fma_f16 v10, v8, v12, -v10
	v_fma_f16 v11, -v7, v8, v11
	s_delay_alu instid0(VALU_DEP_4)
	v_fmac_f16_e32 v13, v7, v8
	v_add_nc_u32_e32 v8, 0x600, v0
	v_fmac_f16_e32 v14, v4, v7
	v_fmac_f16_e32 v10, v4, v7
	v_add_nc_u32_e32 v4, 0x800, v0
	v_lshl_add_u32 v7, v3, 3, v0
	s_delay_alu instid0(VALU_DEP_4) | instskip(NEXT) | instid1(VALU_DEP_4)
	v_pack_b32_f16 v11, v11, v14
	v_pack_b32_f16 v12, v13, v10
	ds_store_b32 v0, v11 offset:3024
	ds_store_b32 v9, v12 offset:3888
	global_wb scope:SCOPE_SE
	s_wait_dscnt 0x0
	s_barrier_signal -1
	s_barrier_wait -1
	global_inv scope:SCOPE_SE
	global_wb scope:SCOPE_SE
	s_barrier_signal -1
	s_barrier_wait -1
	global_inv scope:SCOPE_SE
	ds_load_2addr_b32 v[11:12], v8 offset0:48 offset1:156
	ds_load_2addr_b32 v[13:14], v15 offset0:112 offset1:220
	;; [unrolled: 1-line block ×3, first 2 shown]
	v_add_nc_u32_e32 v8, 0x200, v0
	v_add_nc_u32_e32 v10, 0x1000, v0
	;; [unrolled: 1-line block ×3, first 2 shown]
	ds_load_2addr_b32 v[17:18], v0 offset1:108
	ds_load_2addr_b32 v[19:20], v4 offset0:64 offset1:172
	ds_load_2addr_b32 v[21:22], v10 offset0:128 offset1:236
	;; [unrolled: 1-line block ×5, first 2 shown]
	v_add_nc_u32_e32 v30, 0x510, v7
	v_add_nc_u32_e32 v31, 0xa20, v7
	;; [unrolled: 1-line block ×4, first 2 shown]
	global_wb scope:SCOPE_SE
	s_wait_dscnt 0x0
	s_barrier_signal -1
	s_barrier_wait -1
	global_inv scope:SCOPE_SE
	v_pk_add_f16 v23, v11, v13
	v_pk_add_f16 v33, v13, v15
	;; [unrolled: 1-line block ×4, first 2 shown]
	v_pk_add_f16 v14, v14, v16 neg_lo:[0,1] neg_hi:[0,1]
	v_pk_add_f16 v36, v17, v19
	v_pk_add_f16 v37, v19, v21
	v_pk_add_f16 v19, v19, v21 neg_lo:[0,1] neg_hi:[0,1]
	v_pk_add_f16 v39, v20, v22
	v_pk_add_f16 v40, v20, v22 neg_lo:[0,1] neg_hi:[0,1]
	v_pk_add_f16 v41, v24, v26
	v_pk_add_f16 v42, v26, v28
	v_pk_add_f16 v26, v26, v28 neg_lo:[0,1] neg_hi:[0,1]
	v_pk_add_f16 v43, v25, v27
	v_pk_add_f16 v44, v27, v29
	v_pk_add_f16 v27, v27, v29 neg_lo:[0,1] neg_hi:[0,1]
	v_pk_add_f16 v13, v13, v15 neg_lo:[0,1] neg_hi:[0,1]
	v_pk_add_f16 v38, v18, v20
	v_pk_add_f16 v20, v23, v15
	v_pk_fma_f16 v11, v33, 0.5, v11 op_sel_hi:[1,0,1] neg_lo:[1,0,0] neg_hi:[1,0,0]
	v_pk_add_f16 v23, v34, v16
	v_pk_fma_f16 v12, v35, 0.5, v12 op_sel_hi:[1,0,1] neg_lo:[1,0,0] neg_hi:[1,0,0]
	v_pk_mul_f16 v14, 0x3aee, v14 op_sel_hi:[0,1]
	v_pk_add_f16 v15, v36, v21
	v_pk_fma_f16 v16, v37, 0.5, v17 op_sel_hi:[1,0,1] neg_lo:[1,0,0] neg_hi:[1,0,0]
	v_pk_mul_f16 v17, 0x3aee, v19 op_sel_hi:[0,1]
	v_pk_fma_f16 v18, v39, 0.5, v18 op_sel_hi:[1,0,1] neg_lo:[1,0,0] neg_hi:[1,0,0]
	v_pk_mul_f16 v21, 0x3aee, v40 op_sel_hi:[0,1]
	;; [unrolled: 2-line block ×3, first 2 shown]
	v_pk_add_f16 v34, v43, v29
	v_pk_fma_f16 v29, v44, 0.5, v25 op_sel_hi:[1,0,1] neg_lo:[1,0,0] neg_hi:[1,0,0]
	v_pk_mul_f16 v35, 0x3aee, v27 op_sel_hi:[0,1]
	v_pk_add_f16 v19, v38, v22
	v_pk_add_f16 v22, v41, v28
	v_pk_fma_f16 v26, 0x3aee, v13, v11 op_sel:[0,0,1] op_sel_hi:[0,1,0] neg_lo:[0,1,0] neg_hi:[0,1,0]
	v_pk_fma_f16 v28, 0x3aee, v13, v11 op_sel:[0,0,1] op_sel_hi:[0,1,0]
	v_pk_add_f16 v25, v12, v14 op_sel:[0,1] op_sel_hi:[1,0] neg_lo:[0,1] neg_hi:[0,1]
	v_pk_add_f16 v27, v12, v14 op_sel:[0,1] op_sel_hi:[1,0]
	v_pk_add_f16 v11, v16, v17 op_sel:[0,1] op_sel_hi:[1,0] neg_lo:[0,1] neg_hi:[0,1]
	v_pk_add_f16 v12, v16, v17 op_sel:[0,1] op_sel_hi:[1,0]
	;; [unrolled: 2-line block ×5, first 2 shown]
	v_lshrrev_b32_e32 v29, 16, v25
	v_bfi_b32 v24, 0xffff, v11, v12
	v_bfi_b32 v11, 0xffff, v12, v11
	;; [unrolled: 1-line block ×8, first 2 shown]
	v_alignbit_b32 v21, v26, v28, 16
	v_alignbit_b32 v33, v28, v26, 16
	ds_store_2addr_b32 v30, v19, v12 offset1:1
	ds_store_2addr_b32 v31, v22, v14 offset1:1
	;; [unrolled: 1-line block ×4, first 2 shown]
	ds_store_b32 v7, v11 offset:8
	ds_store_b32 v7, v13 offset:1304
	;; [unrolled: 1-line block ×5, first 2 shown]
	ds_store_2addr_b32 v32, v33, v21 offset1:1
	s_and_saveexec_b32 s1, s0
	s_cbranch_execz .LBB0_21
; %bb.20:
	v_add_nc_u32_e32 v8, 0x1954, v7
	v_bfi_b32 v11, 0xffff, v25, v27
	v_perm_b32 v12, v29, v27, 0x5040100
	ds_store_b32 v7, v23 offset:6480
	ds_store_2addr_b32 v8, v11, v12 offset1:1
.LBB0_21:
	s_wait_alu 0xfffe
	s_or_b32 exec_lo, exec_lo, s1
	v_add_nc_u32_e32 v11, 0x400, v0
	v_add_nc_u32_e32 v19, 0x1600, v0
	global_wb scope:SCOPE_SE
	s_wait_dscnt 0x0
	s_barrier_signal -1
	s_barrier_wait -1
	global_inv scope:SCOPE_SE
	ds_load_2addr_b32 v[7:8], v0 offset1:108
	ds_load_2addr_b32 v[17:18], v11 offset0:32 offset1:140
	ds_load_2addr_b32 v[15:16], v4 offset0:64 offset1:172
	;; [unrolled: 1-line block ×5, first 2 shown]
	v_lshrrev_b32_e32 v30, 16, v26
	v_cmp_gt_u32_e64 s0, 0x48, v3
	s_delay_alu instid0(VALU_DEP_1)
	s_and_saveexec_b32 s1, s0
	s_cbranch_execz .LBB0_23
; %bb.22:
	ds_load_b32 v4, v0 offset:3168
	ds_load_b32 v19, v0 offset:6624
	;; [unrolled: 1-line block ×6, first 2 shown]
	s_wait_dscnt 0x5
	v_lshrrev_b32_e32 v26, 16, v4
	s_wait_dscnt 0x4
	v_lshrrev_b32_e32 v29, 16, v19
	s_wait_dscnt 0x3
	v_alignbit_b32 v28, v4, v30, 16
	s_wait_dscnt 0x2
	v_bfi_b32 v27, 0xffff, v19, v25
.LBB0_23:
	s_wait_alu 0xfffe
	s_or_b32 exec_lo, exec_lo, s1
	v_and_b32_e32 v22, 0xff, v3
	v_add_nc_u16 v21, v3, 0x6c
	s_wait_dscnt 0x4
	v_lshrrev_b32_e32 v56, 16, v17
	s_wait_dscnt 0x3
	v_lshrrev_b32_e32 v57, 16, v15
	;; [unrolled: 2-line block ×3, first 2 shown]
	v_mul_lo_u16 v4, 0xab, v22
	v_and_b32_e32 v24, 0xff, v21
	s_wait_dscnt 0x1
	v_lshrrev_b32_e32 v59, 16, v11
	s_wait_dscnt 0x0
	v_lshrrev_b32_e32 v60, 16, v9
	v_lshrrev_b32_e32 v54, 16, v12
	v_lshrrev_b16 v45, 9, v4
	v_add_nc_u32_e32 v4, 0xd8, v3
	v_mul_lo_u16 v32, 0xab, v24
	v_lshrrev_b32_e32 v55, 16, v10
	v_lshrrev_b32_e32 v61, 16, v18
	v_mul_lo_u16 v31, v45, 3
	v_and_b32_e32 v19, 0xffff, v4
	v_lshrrev_b16 v46, 9, v32
	v_and_b32_e32 v45, 0xffff, v45
	v_lshrrev_b32_e32 v62, 16, v16
	v_sub_nc_u16 v31, v3, v31
	v_mul_u32_u24_e32 v33, 0xaaab, v19
	v_lshrrev_b32_e32 v63, 16, v14
	v_mul_u32_u24_e32 v45, 0x48, v45
	v_lshrrev_b32_e32 v65, 16, v23
	v_and_b32_e32 v47, 0xff, v31
	v_lshrrev_b32_e32 v35, 17, v33
	v_mul_lo_u16 v31, v46, 3
	v_and_b32_e32 v46, 0xffff, v46
	v_lshrrev_b32_e32 v52, 16, v7
	v_mul_u32_u24_e32 v32, 5, v47
	v_mul_lo_u16 v33, v35, 3
	v_sub_nc_u16 v31, v21, v31
	v_mul_u32_u24_e32 v46, 0x48, v46
	v_lshlrev_b32_e32 v47, 2, v47
	v_lshlrev_b32_e32 v37, 2, v32
	v_sub_nc_u16 v36, v4, v33
	v_and_b32_e32 v48, 0xff, v31
	v_lshrrev_b32_e32 v64, 16, v28
	v_add3_u32 v45, 0, v45, v47
	s_clause 0x1
	global_load_b128 v[31:34], v37, s[8:9]
	global_load_b32 v49, v37, s[8:9] offset:16
	v_and_b32_e32 v36, 0xffff, v36
	v_mul_u32_u24_e32 v37, 5, v48
	v_lshlrev_b32_e32 v48, 2, v48
	v_lshrrev_b32_e32 v66, 16, v27
	v_lshrrev_b32_e32 v53, 16, v8
	v_mul_u32_u24_e32 v38, 5, v36
	v_lshlrev_b32_e32 v41, 2, v37
	v_add3_u32 v46, 0, v46, v48
	v_lshrrev_b32_e32 v67, 16, v20
	s_delay_alu instid0(VALU_DEP_4)
	v_lshlrev_b32_e32 v50, 2, v38
	s_clause 0x3
	global_load_b128 v[37:40], v41, s[8:9]
	global_load_b32 v51, v41, s[8:9] offset:16
	global_load_b128 v[41:44], v50, s[8:9]
	global_load_b32 v50, v50, s[8:9] offset:16
	global_wb scope:SCOPE_SE
	s_wait_loadcnt 0x0
	s_barrier_signal -1
	s_barrier_wait -1
	global_inv scope:SCOPE_SE
	v_lshrrev_b32_e32 v47, 16, v31
	v_lshrrev_b32_e32 v48, 16, v32
	;; [unrolled: 1-line block ×5, first 2 shown]
	v_mul_f16_e32 v71, v47, v56
	v_mul_f16_e32 v47, v47, v17
	;; [unrolled: 1-line block ×10, first 2 shown]
	v_lshrrev_b32_e32 v76, 16, v37
	v_lshrrev_b32_e32 v77, 16, v38
	;; [unrolled: 1-line block ×10, first 2 shown]
	v_fmac_f16_e32 v71, v31, v17
	v_fma_f16 v17, v31, v56, -v47
	v_fmac_f16_e32 v72, v32, v15
	v_fma_f16 v15, v32, v57, -v48
	v_fmac_f16_e32 v73, v33, v13
	v_fma_f16 v13, v33, v58, -v68
	v_fmac_f16_e32 v74, v34, v11
	v_fma_f16 v11, v34, v59, -v69
	v_fmac_f16_e32 v75, v49, v9
	v_fma_f16 v9, v49, v60, -v70
	v_mul_f16_e32 v31, v76, v61
	v_mul_f16_e32 v32, v76, v18
	;; [unrolled: 1-line block ×20, first 2 shown]
	v_fmac_f16_e32 v31, v37, v18
	v_fma_f16 v18, v37, v61, -v32
	v_fmac_f16_e32 v33, v38, v16
	v_fma_f16 v16, v38, v62, -v34
	;; [unrolled: 2-line block ×6, first 2 shown]
	v_add_f16_e32 v30, v72, v74
	v_sub_f16_e32 v32, v15, v11
	v_add_f16_e32 v34, v52, v15
	v_add_f16_e32 v15, v15, v11
	;; [unrolled: 1-line block ×3, first 2 shown]
	v_sub_f16_e32 v40, v13, v9
	v_add_f16_e32 v41, v17, v13
	v_add_f16_e32 v13, v13, v9
	v_fmac_f16_e32 v70, v23, v43
	v_fma_f16 v23, v65, v43, -v76
	v_fmac_f16_e32 v79, v27, v50
	v_fma_f16 v27, v29, v50, -v80
	;; [unrolled: 2-line block ×4, first 2 shown]
	v_add_f16_e32 v29, v7, v72
	v_sub_f16_e32 v37, v72, v74
	v_add_f16_e32 v38, v71, v73
	v_sub_f16_e32 v42, v73, v75
	v_fma_f16 v7, -0.5, v30, v7
	v_fmac_f16_e32 v52, -0.5, v15
	v_fmac_f16_e32 v71, -0.5, v39
	;; [unrolled: 1-line block ×3, first 2 shown]
	v_sub_f16_e32 v43, v14, v10
	v_add_f16_e32 v44, v18, v14
	v_add_f16_e32 v14, v14, v10
	v_sub_f16_e32 v60, v23, v27
	v_add_f16_e32 v61, v28, v23
	v_add_f16_e32 v23, v23, v27
	;; [unrolled: 1-line block ×8, first 2 shown]
	v_sub_f16_e32 v34, v16, v12
	v_add_f16_e32 v38, v53, v16
	v_add_f16_e32 v16, v16, v12
	;; [unrolled: 1-line block ×4, first 2 shown]
	v_sub_f16_e32 v47, v47, v57
	v_sub_f16_e32 v51, v26, v25
	v_add_f16_e32 v54, v67, v26
	v_add_f16_e32 v26, v26, v25
	v_fmamk_f16 v63, v32, 0xbaee, v7
	v_fmac_f16_e32 v7, 0x3aee, v32
	v_fmamk_f16 v32, v37, 0x3aee, v52
	v_fmac_f16_e32 v52, 0xbaee, v37
	;; [unrolled: 2-line block ×3, first 2 shown]
	v_fmamk_f16 v40, v42, 0x3aee, v17
	v_fmac_f16_e32 v18, -0.5, v14
	v_add_f16_e32 v48, v20, v68
	v_add_f16_e32 v56, v59, v70
	;; [unrolled: 1-line block ×3, first 2 shown]
	v_sub_f16_e32 v62, v70, v79
	v_fmac_f16_e32 v17, 0xbaee, v42
	v_fmac_f16_e32 v28, -0.5, v23
	v_sub_f16_e32 v33, v33, v49
	v_add_f16_e32 v42, v29, v15
	v_add_f16_e32 v64, v11, v9
	v_sub_f16_e32 v15, v29, v15
	v_sub_f16_e32 v9, v11, v9
	v_add_f16_e32 v11, v13, v49
	v_fmac_f16_e32 v8, -0.5, v30
	v_add_f16_e32 v12, v38, v12
	v_fmac_f16_e32 v53, -0.5, v16
	;; [unrolled: 2-line block ×4, first 2 shown]
	v_add_f16_e32 v26, v61, v27
	v_mul_f16_e32 v27, 0xbaee, v40
	v_mul_f16_e32 v38, 0.5, v40
	v_fmamk_f16 v40, v47, 0x3aee, v18
	v_add_f16_e32 v29, v54, v25
	v_fmac_f16_e32 v18, 0xbaee, v47
	v_add_f16_e32 v50, v68, v77
	v_add_f16_e32 v14, v48, v77
	v_add_f16_e32 v25, v56, v79
	v_fmac_f16_e32 v59, -0.5, v58
	v_mul_f16_e32 v30, 0xbaee, v17
	v_mul_f16_e32 v17, -0.5, v17
	v_fmamk_f16 v47, v62, 0x3aee, v28
	v_fmac_f16_e32 v28, 0xbaee, v62
	v_fmamk_f16 v39, v34, 0xbaee, v8
	v_fmac_f16_e32 v8, 0x3aee, v34
	;; [unrolled: 2-line block ×4, first 2 shown]
	v_add_f16_e32 v41, v11, v13
	v_add_f16_e32 v43, v12, v10
	v_sub_f16_e32 v11, v11, v13
	v_sub_f16_e32 v10, v12, v10
	v_pack_b32_f16 v9, v15, v9
	v_fmac_f16_e32 v27, 0.5, v37
	v_fmac_f16_e32 v38, 0x3aee, v37
	v_mul_f16_e32 v15, 0xbaee, v40
	v_mul_f16_e32 v37, 0.5, v40
	v_add_f16_e32 v23, v29, v26
	v_sub_f16_e32 v26, v29, v26
	v_mul_f16_e32 v29, 0xbaee, v18
	v_mul_f16_e32 v18, -0.5, v18
	v_sub_f16_e32 v55, v68, v77
	v_fma_f16 v16, -0.5, v50, v20
	v_fmamk_f16 v44, v60, 0xbaee, v59
	v_fmac_f16_e32 v59, 0x3aee, v60
	v_add_f16_e32 v20, v14, v25
	v_sub_f16_e32 v25, v14, v25
	v_pack_b32_f16 v14, v42, v64
	v_fmac_f16_e32 v30, -0.5, v71
	v_fmac_f16_e32 v17, 0x3aee, v71
	v_mul_f16_e32 v40, 0xbaee, v47
	v_mul_f16_e32 v42, 0xbaee, v28
	v_mul_f16_e32 v47, 0.5, v47
	v_mul_f16_e32 v48, -0.5, v28
	v_pack_b32_f16 v10, v11, v10
	v_add_f16_e32 v11, v63, v27
	v_add_f16_e32 v49, v32, v38
	v_fmac_f16_e32 v15, 0.5, v33
	v_fmac_f16_e32 v37, 0x3aee, v33
	v_fmac_f16_e32 v29, -0.5, v31
	v_fmac_f16_e32 v18, 0x3aee, v31
	v_fmamk_f16 v12, v51, 0xbaee, v16
	v_fmac_f16_e32 v16, 0x3aee, v51
	v_fmamk_f16 v13, v55, 0x3aee, v67
	v_fmac_f16_e32 v67, 0xbaee, v55
	v_pack_b32_f16 v41, v41, v43
	v_add_f16_e32 v43, v7, v30
	v_add_f16_e32 v50, v52, v17
	v_fmac_f16_e32 v40, 0.5, v44
	v_fmac_f16_e32 v42, -0.5, v59
	v_fmac_f16_e32 v47, 0x3aee, v44
	v_fmac_f16_e32 v48, 0x3aee, v59
	v_sub_f16_e32 v51, v63, v27
	v_sub_f16_e32 v7, v7, v30
	;; [unrolled: 1-line block ×4, first 2 shown]
	v_add_f16_e32 v44, v39, v15
	v_add_f16_e32 v54, v34, v37
	v_pack_b32_f16 v11, v11, v49
	v_add_f16_e32 v52, v8, v29
	v_add_f16_e32 v55, v53, v18
	v_sub_f16_e32 v15, v39, v15
	v_sub_f16_e32 v8, v8, v29
	;; [unrolled: 1-line block ×4, first 2 shown]
	v_add_f16_e32 v27, v12, v40
	v_add_f16_e32 v28, v16, v42
	;; [unrolled: 1-line block ×4, first 2 shown]
	v_sub_f16_e32 v30, v12, v40
	v_sub_f16_e32 v31, v16, v42
	;; [unrolled: 1-line block ×4, first 2 shown]
	v_pack_b32_f16 v12, v43, v50
	v_pack_b32_f16 v13, v51, v38
	;; [unrolled: 1-line block ×3, first 2 shown]
	ds_store_2addr_b32 v45, v14, v11 offset1:3
	v_pack_b32_f16 v11, v44, v54
	v_pack_b32_f16 v14, v52, v55
	;; [unrolled: 1-line block ×4, first 2 shown]
	ds_store_2addr_b32 v45, v12, v9 offset0:6 offset1:9
	ds_store_2addr_b32 v45, v13, v7 offset0:12 offset1:15
	ds_store_2addr_b32 v46, v41, v11 offset1:3
	ds_store_2addr_b32 v46, v14, v10 offset0:6 offset1:9
	ds_store_2addr_b32 v46, v15, v8 offset0:12 offset1:15
	s_and_saveexec_b32 s1, s0
	s_cbranch_execz .LBB0_25
; %bb.24:
	v_mul_lo_u16 v7, v35, 18
	v_lshlrev_b32_e32 v8, 2, v36
	v_perm_b32 v9, v23, v20, 0x5040100
	v_perm_b32 v10, v29, v27, 0x5040100
	;; [unrolled: 1-line block ×3, first 2 shown]
	v_and_b32_e32 v7, 0xffff, v7
	v_perm_b32 v12, v26, v25, 0x5040100
	v_perm_b32 v13, v33, v31, 0x5040100
	s_delay_alu instid0(VALU_DEP_3) | instskip(NEXT) | instid1(VALU_DEP_1)
	v_lshlrev_b32_e32 v7, 2, v7
	v_add3_u32 v7, 0, v8, v7
	v_perm_b32 v8, v34, v30, 0x5040100
	ds_store_2addr_b32 v7, v9, v10 offset1:3
	ds_store_2addr_b32 v7, v11, v12 offset0:6 offset1:9
	ds_store_2addr_b32 v7, v8, v13 offset0:12 offset1:15
.LBB0_25:
	s_wait_alu 0xfffe
	s_or_b32 exec_lo, exec_lo, s1
	v_add_nc_u32_e32 v9, 0x400, v0
	v_add_nc_u32_e32 v10, 0x800, v0
	;; [unrolled: 1-line block ×5, first 2 shown]
	global_wb scope:SCOPE_SE
	s_wait_dscnt 0x0
	s_barrier_signal -1
	s_barrier_wait -1
	global_inv scope:SCOPE_SE
	ds_load_2addr_b32 v[7:8], v0 offset1:108
	ds_load_2addr_b32 v[17:18], v9 offset0:32 offset1:140
	ds_load_2addr_b32 v[15:16], v10 offset0:64 offset1:172
	;; [unrolled: 1-line block ×5, first 2 shown]
	s_and_saveexec_b32 s1, s0
	s_cbranch_execz .LBB0_27
; %bb.26:
	ds_load_b32 v20, v0 offset:864
	ds_load_b32 v27, v0 offset:2016
	;; [unrolled: 1-line block ×6, first 2 shown]
	s_wait_dscnt 0x5
	v_lshrrev_b32_e32 v23, 16, v20
	s_wait_dscnt 0x4
	v_lshrrev_b32_e32 v29, 16, v27
	;; [unrolled: 2-line block ×6, first 2 shown]
.LBB0_27:
	s_wait_alu 0xfffe
	s_or_b32 exec_lo, exec_lo, s1
	v_mul_lo_u16 v22, v22, 57
	v_mul_lo_u16 v24, v24, 57
	s_wait_dscnt 0x4
	v_lshrrev_b32_e32 v50, 16, v17
	s_wait_dscnt 0x2
	v_lshrrev_b32_e32 v52, 16, v13
	;; [unrolled: 2-line block ×3, first 2 shown]
	v_lshrrev_b16 v22, 10, v22
	v_lshrrev_b16 v24, 10, v24
	v_lshrrev_b32_e32 v49, 16, v10
	v_lshrrev_b32_e32 v51, 16, v15
	;; [unrolled: 1-line block ×3, first 2 shown]
	v_mul_lo_u16 v35, v22, 18
	v_mul_lo_u16 v36, v24, 18
	v_and_b32_e32 v24, 0xffff, v24
	v_and_b32_e32 v22, 0xffff, v22
	v_lshrrev_b32_e32 v55, 16, v18
	v_sub_nc_u16 v35, v3, v35
	v_sub_nc_u16 v21, v21, v36
	v_mul_u32_u24_e32 v24, 0x1b0, v24
	v_mul_u32_u24_e32 v22, 0x1b0, v22
	v_lshrrev_b32_e32 v57, 16, v14
	v_and_b32_e32 v43, 0xff, v35
	v_and_b32_e32 v21, 0xff, v21
	v_lshrrev_b32_e32 v48, 16, v12
	v_lshrrev_b32_e32 v56, 16, v16
	;; [unrolled: 1-line block ×3, first 2 shown]
	v_mul_u32_u24_e32 v35, 5, v43
	v_mul_u32_u24_e32 v36, 5, v21
	v_lshlrev_b32_e32 v21, 2, v21
	v_lshlrev_b32_e32 v43, 2, v43
	v_lshrrev_b32_e32 v47, 16, v8
	v_lshlrev_b32_e32 v39, 2, v35
	v_lshlrev_b32_e32 v44, 2, v36
	v_add3_u32 v21, 0, v24, v21
	v_add3_u32 v22, 0, v22, v43
	s_clause 0x3
	global_load_b128 v[35:38], v39, s[8:9] offset:60
	global_load_b32 v45, v39, s[8:9] offset:76
	global_load_b128 v[39:42], v44, s[8:9] offset:60
	global_load_b32 v44, v44, s[8:9] offset:76
	global_wb scope:SCOPE_SE
	s_wait_loadcnt 0x0
	s_barrier_signal -1
	s_barrier_wait -1
	global_inv scope:SCOPE_SE
	v_lshrrev_b32_e32 v24, 16, v35
	v_lshrrev_b32_e32 v58, 16, v37
	;; [unrolled: 1-line block ×10, first 2 shown]
	v_mul_f16_e32 v66, v24, v50
	v_mul_f16_e32 v24, v24, v17
	;; [unrolled: 1-line block ×19, first 2 shown]
	v_fmac_f16_e32 v66, v35, v17
	v_fma_f16 v17, v35, v50, -v24
	v_fmac_f16_e32 v68, v37, v13
	v_fma_f16 v13, v37, v52, -v58
	;; [unrolled: 2-line block ×3, first 2 shown]
	v_mul_f16_e32 v59, v59, v11
	v_fmac_f16_e32 v67, v36, v15
	v_fmac_f16_e32 v69, v38, v11
	;; [unrolled: 1-line block ×3, first 2 shown]
	v_fma_f16 v18, v39, v55, -v61
	v_fmac_f16_e32 v73, v41, v14
	v_fma_f16 v14, v41, v57, -v63
	v_fmac_f16_e32 v75, v10, v44
	v_fma_f16 v10, v49, v44, -v65
	v_fma_f16 v15, v36, v51, -v43
	v_fmac_f16_e32 v72, v40, v16
	v_fma_f16 v16, v40, v56, -v62
	v_fmac_f16_e32 v74, v12, v42
	v_fma_f16 v12, v48, v42, -v64
	v_sub_f16_e32 v41, v13, v9
	v_add_f16_e32 v42, v17, v13
	v_add_f16_e32 v13, v13, v9
	v_fma_f16 v11, v38, v53, -v59
	v_add_f16_e32 v35, v67, v69
	v_add_f16_e32 v40, v68, v70
	v_sub_f16_e32 v53, v14, v10
	v_add_f16_e32 v54, v18, v14
	v_add_f16_e32 v14, v14, v10
	;; [unrolled: 1-line block ×3, first 2 shown]
	v_sub_f16_e32 v43, v68, v70
	v_add_f16_e32 v49, v47, v16
	v_fmac_f16_e32 v17, -0.5, v13
	v_add_f16_e32 v44, v8, v72
	v_sub_f16_e32 v48, v16, v12
	v_add_f16_e32 v16, v16, v12
	v_add_f16_e32 v51, v71, v73
	;; [unrolled: 1-line block ×3, first 2 shown]
	v_sub_f16_e32 v36, v15, v11
	v_add_f16_e32 v39, v66, v68
	v_add_f16_e32 v52, v73, v75
	v_sub_f16_e32 v55, v73, v75
	v_fma_f16 v7, -0.5, v35, v7
	v_fmac_f16_e32 v66, -0.5, v40
	v_fmac_f16_e32 v18, -0.5, v14
	v_add_f16_e32 v15, v15, v11
	v_add_f16_e32 v11, v37, v11
	v_add_f16_e32 v12, v49, v12
	v_add_f16_e32 v10, v54, v10
	v_fmamk_f16 v37, v43, 0x3aee, v17
	v_add_f16_e32 v13, v44, v74
	v_fmac_f16_e32 v47, -0.5, v16
	v_add_f16_e32 v16, v51, v75
	v_fmac_f16_e32 v17, 0xbaee, v43
	v_add_f16_e32 v45, v72, v74
	v_fmac_f16_e32 v71, -0.5, v52
	v_fmamk_f16 v14, v36, 0xbaee, v7
	v_fmac_f16_e32 v7, 0x3aee, v36
	v_fmamk_f16 v36, v41, 0xbaee, v66
	v_fmac_f16_e32 v66, 0x3aee, v41
	v_fmamk_f16 v41, v55, 0x3aee, v18
	v_fmac_f16_e32 v18, 0xbaee, v55
	v_sub_f16_e32 v38, v67, v69
	v_add_f16_e32 v24, v24, v69
	v_fmac_f16_e32 v46, -0.5, v15
	v_add_f16_e32 v15, v39, v70
	v_add_f16_e32 v9, v42, v9
	;; [unrolled: 1-line block ×3, first 2 shown]
	v_sub_f16_e32 v10, v12, v10
	v_mul_f16_e32 v12, 0xbaee, v37
	v_mul_f16_e32 v37, 0.5, v37
	v_add_f16_e32 v42, v13, v16
	v_sub_f16_e32 v13, v13, v16
	v_mul_f16_e32 v16, 0xbaee, v17
	v_mul_f16_e32 v17, -0.5, v17
	v_sub_f16_e32 v50, v72, v74
	v_fmac_f16_e32 v8, -0.5, v45
	v_fmamk_f16 v40, v53, 0xbaee, v71
	v_mul_f16_e32 v44, 0xbaee, v41
	v_mul_f16_e32 v41, 0.5, v41
	v_fmac_f16_e32 v71, 0x3aee, v53
	v_mul_f16_e32 v45, 0xbaee, v18
	v_mul_f16_e32 v18, -0.5, v18
	v_fmamk_f16 v35, v38, 0x3aee, v46
	v_fmac_f16_e32 v46, 0xbaee, v38
	v_add_f16_e32 v38, v24, v15
	v_add_f16_e32 v39, v11, v9
	v_fmac_f16_e32 v12, 0.5, v36
	v_fmac_f16_e32 v37, 0x3aee, v36
	v_fmac_f16_e32 v16, -0.5, v66
	v_fmac_f16_e32 v17, 0x3aee, v66
	v_sub_f16_e32 v15, v24, v15
	v_sub_f16_e32 v9, v11, v9
	v_fmamk_f16 v11, v48, 0xbaee, v8
	v_fmamk_f16 v24, v50, 0x3aee, v47
	v_fmac_f16_e32 v44, 0.5, v40
	v_fmac_f16_e32 v41, 0x3aee, v40
	v_fmac_f16_e32 v8, 0x3aee, v48
	;; [unrolled: 1-line block ×3, first 2 shown]
	v_fmac_f16_e32 v45, -0.5, v71
	v_fmac_f16_e32 v18, 0x3aee, v71
	v_pack_b32_f16 v38, v38, v39
	v_pack_b32_f16 v10, v13, v10
	v_add_f16_e32 v13, v14, v12
	v_add_f16_e32 v39, v35, v37
	v_add_f16_e32 v36, v7, v16
	v_add_f16_e32 v40, v46, v17
	v_sub_f16_e32 v12, v14, v12
	v_sub_f16_e32 v7, v7, v16
	v_sub_f16_e32 v14, v35, v37
	v_sub_f16_e32 v16, v46, v17
	v_add_f16_e32 v17, v11, v44
	v_add_f16_e32 v37, v24, v41
	v_pack_b32_f16 v9, v15, v9
	v_pack_b32_f16 v15, v42, v43
	v_add_f16_e32 v35, v8, v45
	v_add_f16_e32 v42, v47, v18
	v_sub_f16_e32 v11, v11, v44
	v_sub_f16_e32 v8, v8, v45
	;; [unrolled: 1-line block ×4, first 2 shown]
	v_pack_b32_f16 v13, v13, v39
	v_pack_b32_f16 v36, v36, v40
	;; [unrolled: 1-line block ×8, first 2 shown]
	ds_store_2addr_b32 v22, v38, v13 offset1:18
	ds_store_2addr_b32 v22, v36, v9 offset0:36 offset1:54
	ds_store_2addr_b32 v22, v12, v7 offset0:72 offset1:90
	ds_store_2addr_b32 v21, v15, v14 offset1:18
	ds_store_2addr_b32 v21, v16, v10 offset0:36 offset1:54
	ds_store_2addr_b32 v21, v11, v8 offset0:72 offset1:90
	s_and_saveexec_b32 s1, s0
	s_cbranch_execz .LBB0_29
; %bb.28:
	v_mul_u32_u24_e32 v7, 0xe38f, v19
	s_delay_alu instid0(VALU_DEP_1) | instskip(NEXT) | instid1(VALU_DEP_1)
	v_lshrrev_b32_e32 v11, 20, v7
	v_mul_lo_u16 v7, v11, 18
	v_mul_lo_u16 v11, 0x6c, v11
	s_delay_alu instid0(VALU_DEP_2) | instskip(NEXT) | instid1(VALU_DEP_2)
	v_sub_nc_u16 v4, v4, v7
	v_and_b32_e32 v11, 0xffff, v11
	s_delay_alu instid0(VALU_DEP_2) | instskip(NEXT) | instid1(VALU_DEP_2)
	v_and_b32_e32 v4, 0xffff, v4
	v_lshlrev_b32_e32 v11, 2, v11
	s_delay_alu instid0(VALU_DEP_2) | instskip(SKIP_1) | instid1(VALU_DEP_2)
	v_mul_u32_u24_e32 v7, 5, v4
	v_lshlrev_b32_e32 v4, 2, v4
	v_lshlrev_b32_e32 v12, 2, v7
	s_delay_alu instid0(VALU_DEP_2)
	v_add3_u32 v4, 0, v4, v11
	s_clause 0x1
	global_load_b128 v[7:10], v12, s[8:9] offset:60
	global_load_b32 v12, v12, s[8:9] offset:76
	s_wait_loadcnt 0x1
	v_lshrrev_b32_e32 v11, 16, v8
	v_lshrrev_b32_e32 v15, 16, v9
	s_wait_loadcnt 0x0
	v_lshrrev_b32_e32 v16, 16, v12
	v_lshrrev_b32_e32 v13, 16, v10
	;; [unrolled: 1-line block ×3, first 2 shown]
	v_mul_f16_e32 v17, v28, v11
	v_mul_f16_e32 v11, v32, v11
	;; [unrolled: 1-line block ×10, first 2 shown]
	v_fma_f16 v17, v32, v8, -v17
	v_fmac_f16_e32 v11, v28, v8
	v_fmac_f16_e32 v21, v25, v9
	v_fma_f16 v8, v26, v9, -v15
	v_fma_f16 v9, v33, v12, -v16
	;; [unrolled: 1-line block ×3, first 2 shown]
	v_fmac_f16_e32 v13, v30, v10
	v_fmac_f16_e32 v19, v27, v7
	;; [unrolled: 1-line block ×3, first 2 shown]
	v_fma_f16 v7, v29, v7, -v14
	v_add_f16_e32 v16, v8, v9
	v_add_f16_e32 v10, v17, v18
	v_sub_f16_e32 v15, v8, v9
	v_add_f16_e32 v14, v21, v22
	v_sub_f16_e32 v24, v21, v22
	v_add_f16_e32 v25, v23, v17
	v_add_f16_e32 v8, v7, v8
	;; [unrolled: 1-line block ×3, first 2 shown]
	v_fma_f16 v7, -0.5, v16, v7
	v_sub_f16_e32 v12, v11, v13
	v_add_f16_e32 v11, v20, v11
	v_add_f16_e32 v21, v19, v21
	v_fma_f16 v10, -0.5, v10, v23
	v_fma_f16 v14, -0.5, v14, v19
	v_add_f16_e32 v16, v25, v18
	v_add_f16_e32 v8, v8, v9
	v_fma_f16 v9, -0.5, v26, v20
	v_fmamk_f16 v20, v24, 0xbaee, v7
	v_fmac_f16_e32 v7, 0x3aee, v24
	v_sub_f16_e32 v17, v17, v18
	v_add_f16_e32 v11, v11, v13
	v_add_f16_e32 v13, v21, v22
	v_fmamk_f16 v18, v12, 0xbaee, v10
	v_fmamk_f16 v19, v15, 0x3aee, v14
	v_fmac_f16_e32 v10, 0x3aee, v12
	v_fmac_f16_e32 v14, 0xbaee, v15
	v_sub_f16_e32 v12, v16, v8
	v_add_f16_e32 v8, v16, v8
	v_mul_f16_e32 v16, -0.5, v20
	v_mul_f16_e32 v21, 0.5, v7
	v_mul_f16_e32 v7, 0xbaee, v7
	v_fmamk_f16 v15, v17, 0x3aee, v9
	v_fmac_f16_e32 v9, 0xbaee, v17
	v_sub_f16_e32 v17, v11, v13
	v_add_f16_e32 v11, v11, v13
	v_mul_f16_e32 v13, 0xbaee, v20
	v_fmac_f16_e32 v16, 0x3aee, v19
	v_fmac_f16_e32 v21, 0x3aee, v14
	v_fmac_f16_e32 v7, 0.5, v14
	v_pack_b32_f16 v8, v11, v8
	v_fmac_f16_e32 v13, -0.5, v19
	v_sub_f16_e32 v11, v18, v16
	v_sub_f16_e32 v14, v10, v21
	v_add_f16_e32 v16, v18, v16
	v_add_f16_e32 v10, v10, v21
	;; [unrolled: 1-line block ×4, first 2 shown]
	v_sub_f16_e32 v7, v9, v7
	v_sub_f16_e32 v9, v15, v13
	v_pack_b32_f16 v12, v17, v12
	v_pack_b32_f16 v10, v18, v10
	;; [unrolled: 1-line block ×5, first 2 shown]
	ds_store_2addr_b32 v4, v8, v10 offset1:18
	ds_store_2addr_b32 v4, v13, v12 offset0:36 offset1:54
	ds_store_2addr_b32 v4, v7, v9 offset0:72 offset1:90
.LBB0_29:
	s_wait_alu 0xfffe
	s_or_b32 exec_lo, exec_lo, s1
	v_mul_u32_u24_e32 v4, 15, v3
	global_wb scope:SCOPE_SE
	s_wait_dscnt 0x0
	s_barrier_signal -1
	s_barrier_wait -1
	global_inv scope:SCOPE_SE
	v_lshlrev_b32_e32 v4, 2, v4
	v_add_nc_u32_e32 v39, 0xc00, v0
	v_add_nc_u32_e32 v40, 0x1000, v0
	;; [unrolled: 1-line block ×4, first 2 shown]
	s_clause 0x3
	global_load_b128 v[7:10], v4, s[8:9] offset:420
	global_load_b128 v[11:14], v4, s[8:9] offset:436
	;; [unrolled: 1-line block ×3, first 2 shown]
	global_load_b96 v[19:21], v4, s[8:9] offset:468
	v_add_nc_u32_e32 v4, 0x600, v0
	v_add_nc_u32_e32 v42, 0x1600, v0
	;; [unrolled: 1-line block ×3, first 2 shown]
	ds_load_2addr_b32 v[22:23], v0 offset1:108
	ds_load_2addr_b32 v[24:25], v4 offset0:48 offset1:156
	ds_load_2addr_b32 v[26:27], v38 offset0:136 offset1:244
	;; [unrolled: 1-line block ×7, first 2 shown]
	global_wb scope:SCOPE_SE
	s_wait_loadcnt_dscnt 0x0
	s_barrier_signal -1
	s_barrier_wait -1
	global_inv scope:SCOPE_SE
	v_lshrrev_b32_e32 v44, 16, v23
	v_lshrrev_b32_e32 v46, 16, v25
	;; [unrolled: 1-line block ×31, first 2 shown]
	v_mul_f16_e32 v75, v60, v44
	v_mul_f16_e32 v60, v60, v23
	;; [unrolled: 1-line block ×30, first 2 shown]
	v_fmac_f16_e32 v75, v7, v23
	v_fma_f16 v7, v7, v44, -v60
	v_fmac_f16_e32 v76, v8, v36
	v_fma_f16 v8, v8, v57, -v61
	;; [unrolled: 2-line block ×15, first 2 shown]
	v_sub_f16_e32 v23, v22, v82
	v_sub_f16_e32 v14, v45, v14
	;; [unrolled: 1-line block ×16, first 2 shown]
	v_fma_f16 v22, v22, 2.0, -v23
	v_fma_f16 v32, v78, 2.0, -v24
	;; [unrolled: 1-line block ×12, first 2 shown]
	v_add_f16_e32 v18, v23, v18
	v_sub_f16_e32 v24, v14, v24
	v_add_f16_e32 v20, v25, v20
	v_sub_f16_e32 v26, v16, v26
	;; [unrolled: 2-line block ×4, first 2 shown]
	v_fma_f16 v31, v45, 2.0, -v14
	v_fma_f16 v8, v8, 2.0, -v16
	;; [unrolled: 1-line block ×4, first 2 shown]
	v_sub_f16_e32 v32, v22, v32
	v_fma_f16 v23, v23, 2.0, -v18
	v_fma_f16 v14, v14, 2.0, -v24
	v_sub_f16_e32 v34, v33, v34
	v_fma_f16 v25, v25, 2.0, -v20
	v_fma_f16 v16, v16, 2.0, -v26
	;; [unrolled: 3-line block ×4, first 2 shown]
	v_fmamk_f16 v45, v20, 0x39a8, v18
	v_fmamk_f16 v46, v26, 0x39a8, v24
	v_sub_f16_e32 v10, v31, v10
	v_sub_f16_e32 v12, v8, v12
	v_sub_f16_e32 v11, v7, v11
	v_sub_f16_e32 v13, v9, v13
	v_fmamk_f16 v47, v21, 0x39a8, v19
	v_fmamk_f16 v48, v30, 0x39a8, v28
	v_fma_f16 v22, v22, 2.0, -v32
	v_fma_f16 v33, v33, 2.0, -v34
	;; [unrolled: 1-line block ×4, first 2 shown]
	v_fmamk_f16 v49, v25, 0xb9a8, v23
	v_fmamk_f16 v50, v16, 0xb9a8, v14
	v_fmac_f16_e32 v45, 0x39a8, v26
	v_fmac_f16_e32 v46, 0xb9a8, v20
	v_fmamk_f16 v20, v29, 0xb9a8, v27
	v_fmamk_f16 v26, v17, 0xb9a8, v15
	v_fma_f16 v8, v8, 2.0, -v12
	v_fma_f16 v9, v9, 2.0, -v13
	v_add_f16_e32 v12, v32, v12
	v_sub_f16_e32 v34, v10, v34
	v_add_f16_e32 v13, v36, v13
	v_sub_f16_e32 v44, v11, v44
	v_fmac_f16_e32 v47, 0x39a8, v30
	v_fmac_f16_e32 v48, 0xb9a8, v21
	v_fma_f16 v31, v31, 2.0, -v10
	v_fma_f16 v7, v7, 2.0, -v11
	v_sub_f16_e32 v21, v22, v33
	v_fmac_f16_e32 v49, 0x39a8, v16
	v_fmac_f16_e32 v50, 0xb9a8, v25
	v_sub_f16_e32 v25, v35, v37
	v_fmac_f16_e32 v20, 0x39a8, v17
	v_fmac_f16_e32 v26, 0xb9a8, v29
	v_fma_f16 v16, v32, 2.0, -v12
	v_fma_f16 v10, v10, 2.0, -v34
	v_fma_f16 v18, v18, 2.0, -v45
	v_fma_f16 v24, v24, 2.0, -v46
	v_fma_f16 v17, v36, 2.0, -v13
	v_fma_f16 v11, v11, 2.0, -v44
	v_fma_f16 v19, v19, 2.0, -v47
	v_fma_f16 v28, v28, 2.0, -v48
	v_sub_f16_e32 v8, v31, v8
	v_sub_f16_e32 v9, v7, v9
	v_fmamk_f16 v29, v13, 0x39a8, v12
	v_fmamk_f16 v30, v44, 0x39a8, v34
	;; [unrolled: 1-line block ×4, first 2 shown]
	v_fma_f16 v22, v22, 2.0, -v21
	v_fma_f16 v23, v23, 2.0, -v49
	;; [unrolled: 1-line block ×6, first 2 shown]
	v_fmamk_f16 v36, v17, 0xb9a8, v16
	v_fmamk_f16 v37, v11, 0xb9a8, v10
	;; [unrolled: 1-line block ×6, first 2 shown]
	v_fma_f16 v7, v7, 2.0, -v9
	v_add_f16_e32 v9, v21, v9
	v_sub_f16_e32 v25, v8, v25
	v_fmac_f16_e32 v29, 0x39a8, v44
	v_fmac_f16_e32 v30, 0xb9a8, v13
	;; [unrolled: 1-line block ×4, first 2 shown]
	v_fma_f16 v31, v31, 2.0, -v8
	v_sub_f16_e32 v13, v22, v35
	v_fmamk_f16 v35, v27, 0xbb64, v23
	v_fmamk_f16 v44, v15, 0xbb64, v14
	v_fmac_f16_e32 v36, 0x39a8, v11
	v_fmac_f16_e32 v37, 0xb9a8, v17
	;; [unrolled: 1-line block ×6, first 2 shown]
	v_fma_f16 v11, v21, 2.0, -v9
	v_fma_f16 v8, v8, 2.0, -v25
	;; [unrolled: 1-line block ×6, first 2 shown]
	v_sub_f16_e32 v7, v31, v7
	v_fmac_f16_e32 v35, 0x361f, v15
	v_fmac_f16_e32 v44, 0xb61f, v27
	v_fma_f16 v15, v16, 2.0, -v36
	v_fma_f16 v10, v10, 2.0, -v37
	;; [unrolled: 1-line block ×6, first 2 shown]
	v_pack_b32_f16 v8, v11, v8
	v_pack_b32_f16 v11, v12, v17
	;; [unrolled: 1-line block ×6, first 2 shown]
	v_fma_f16 v22, v22, 2.0, -v13
	v_fma_f16 v26, v31, 2.0, -v7
	;; [unrolled: 1-line block ×4, first 2 shown]
	v_pack_b32_f16 v7, v13, v7
	v_pack_b32_f16 v13, v36, v37
	;; [unrolled: 1-line block ×7, first 2 shown]
	ds_store_2addr_b32 v38, v11, v12 offset0:136 offset1:244
	v_pack_b32_f16 v11, v35, v44
	ds_store_2addr_b32 v42, v21, v25 offset0:104 offset1:212
	v_pack_b32_f16 v21, v22, v26
	v_pack_b32_f16 v12, v20, v14
	ds_store_2addr_b32 v40, v13, v17 offset0:56 offset1:164
	ds_store_2addr_b32 v41, v9, v19 offset0:16 offset1:124
	ds_store_2addr_b32 v43, v10, v15 offset0:88 offset1:196
	ds_store_2addr_b32 v4, v8, v16 offset0:48 offset1:156
	ds_store_2addr_b32 v39, v7, v11 offset0:96 offset1:204
	ds_store_2addr_b32 v0, v21, v12 offset1:108
	global_wb scope:SCOPE_SE
	s_wait_dscnt 0x0
	s_barrier_signal -1
	s_barrier_wait -1
	global_inv scope:SCOPE_SE
	s_and_saveexec_b32 s0, vcc_lo
	s_cbranch_execz .LBB0_31
; %bb.30:
	v_mul_lo_u32 v0, s3, v5
	v_mul_lo_u32 v7, s2, v6
	v_mad_co_u64_u32 v[5:6], null, s2, v5, 0
	v_mov_b32_e32 v4, 0
	v_lshl_add_u32 v31, v3, 2, 0
	ds_load_2addr_b32 v[11:12], v31 offset1:108
	v_add3_u32 v6, v6, v7, v0
	v_add_nc_u32_e32 v7, 0x6c, v3
	v_lshlrev_b64_e32 v[0:1], 2, v[1:2]
	v_lshlrev_b64_e32 v[13:14], 2, v[3:4]
	v_dual_mov_b32 v8, v4 :: v_dual_add_nc_u32 v9, 0xd8, v3
	v_lshlrev_b64_e32 v[5:6], 2, v[5:6]
	v_mov_b32_e32 v10, v4
	v_add_nc_u32_e32 v2, 0x200, v31
	v_dual_mov_b32 v20, v4 :: v_dual_add_nc_u32 v19, 0x21c, v3
	v_dual_mov_b32 v22, v4 :: v_dual_add_nc_u32 v21, 0x288, v3
	v_add_co_u32 v15, vcc_lo, s6, v5
	s_wait_alu 0xfffd
	v_add_co_ci_u32_e32 v16, vcc_lo, s7, v6, vcc_lo
	v_lshlrev_b64_e32 v[5:6], 2, v[7:8]
	s_delay_alu instid0(VALU_DEP_3) | instskip(SKIP_1) | instid1(VALU_DEP_3)
	v_add_co_u32 v32, vcc_lo, v15, v0
	s_wait_alu 0xfffd
	v_add_co_ci_u32_e32 v33, vcc_lo, v16, v1, vcc_lo
	v_lshlrev_b64_e32 v[0:1], 2, v[9:10]
	s_delay_alu instid0(VALU_DEP_3)
	v_add_co_u32 v7, vcc_lo, v32, v13
	v_add_nc_u32_e32 v9, 0x144, v3
	s_wait_alu 0xfffd
	v_add_co_ci_u32_e32 v8, vcc_lo, v33, v14, vcc_lo
	ds_load_2addr_b32 v[13:14], v2 offset0:88 offset1:196
	v_add_nc_u32_e32 v2, 0x600, v31
	v_dual_mov_b32 v16, v4 :: v_dual_add_nc_u32 v15, 0x1b0, v3
	v_add_co_u32 v5, vcc_lo, v32, v5
	v_lshlrev_b64_e32 v[9:10], 2, v[9:10]
	ds_load_2addr_b32 v[17:18], v2 offset0:48 offset1:156
	v_add_nc_u32_e32 v2, 0x800, v31
	s_wait_alu 0xfffd
	v_add_co_ci_u32_e32 v6, vcc_lo, v33, v6, vcc_lo
	v_add_co_u32 v0, vcc_lo, v32, v0
	v_lshlrev_b64_e32 v[15:16], 2, v[15:16]
	s_wait_alu 0xfffd
	v_add_co_ci_u32_e32 v1, vcc_lo, v33, v1, vcc_lo
	v_add_co_u32 v9, vcc_lo, v32, v9
	v_lshlrev_b64_e32 v[19:20], 2, v[19:20]
	ds_load_2addr_b32 v[25:26], v2 offset0:136 offset1:244
	v_dual_mov_b32 v24, v4 :: v_dual_add_nc_u32 v23, 0x2f4, v3
	s_wait_alu 0xfffd
	v_add_co_ci_u32_e32 v10, vcc_lo, v33, v10, vcc_lo
	v_add_co_u32 v15, vcc_lo, v32, v15
	v_lshlrev_b64_e32 v[21:22], 2, v[21:22]
	s_wait_alu 0xfffd
	v_add_co_ci_u32_e32 v16, vcc_lo, v33, v16, vcc_lo
	v_add_co_u32 v19, vcc_lo, v32, v19
	v_lshlrev_b64_e32 v[23:24], 2, v[23:24]
	s_wait_alu 0xfffd
	v_add_co_ci_u32_e32 v20, vcc_lo, v33, v20, vcc_lo
	v_add_co_u32 v21, vcc_lo, v32, v21
	v_dual_mov_b32 v28, v4 :: v_dual_add_nc_u32 v27, 0x360, v3
	v_add_nc_u32_e32 v2, 0xc00, v31
	s_wait_alu 0xfffd
	v_add_co_ci_u32_e32 v22, vcc_lo, v33, v22, vcc_lo
	v_add_co_u32 v23, vcc_lo, v32, v23
	v_dual_mov_b32 v30, v4 :: v_dual_add_nc_u32 v29, 0x3cc, v3
	s_wait_alu 0xfffd
	v_add_co_ci_u32_e32 v24, vcc_lo, v33, v24, vcc_lo
	s_wait_dscnt 0x3
	s_clause 0x1
	global_store_b32 v[7:8], v11, off
	global_store_b32 v[5:6], v12, off
	s_wait_dscnt 0x2
	s_clause 0x1
	global_store_b32 v[0:1], v13, off
	global_store_b32 v[9:10], v14, off
	s_wait_dscnt 0x1
	s_clause 0x1
	global_store_b32 v[15:16], v17, off
	global_store_b32 v[19:20], v18, off
	s_wait_dscnt 0x0
	s_clause 0x1
	global_store_b32 v[21:22], v25, off
	global_store_b32 v[23:24], v26, off
	v_lshlrev_b64_e32 v[0:1], 2, v[27:28]
	ds_load_2addr_b32 v[5:6], v2 offset0:96 offset1:204
	v_add_nc_u32_e32 v2, 0x1000, v31
	v_dual_mov_b32 v10, v4 :: v_dual_add_nc_u32 v9, 0x438, v3
	v_lshlrev_b64_e32 v[7:8], 2, v[29:30]
	v_dual_mov_b32 v14, v4 :: v_dual_add_nc_u32 v13, 0x4a4, v3
	ds_load_2addr_b32 v[11:12], v2 offset0:56 offset1:164
	v_add_nc_u32_e32 v2, 0x1400, v31
	v_add_co_u32 v0, vcc_lo, v32, v0
	v_lshlrev_b64_e32 v[9:10], 2, v[9:10]
	v_dual_mov_b32 v16, v4 :: v_dual_add_nc_u32 v15, 0x510, v3
	s_wait_alu 0xfffd
	v_add_co_ci_u32_e32 v1, vcc_lo, v33, v1, vcc_lo
	v_add_co_u32 v7, vcc_lo, v32, v7
	v_lshlrev_b64_e32 v[13:14], 2, v[13:14]
	v_dual_mov_b32 v18, v4 :: v_dual_add_nc_u32 v17, 0x57c, v3
	ds_load_2addr_b32 v[19:20], v2 offset0:16 offset1:124
	v_add_nc_u32_e32 v2, 0x1600, v31
	s_wait_alu 0xfffd
	v_add_co_ci_u32_e32 v8, vcc_lo, v33, v8, vcc_lo
	v_add_co_u32 v9, vcc_lo, v32, v9
	v_lshlrev_b64_e32 v[15:16], 2, v[15:16]
	v_dual_mov_b32 v22, v4 :: v_dual_add_nc_u32 v21, 0x5e8, v3
	s_wait_alu 0xfffd
	v_add_co_ci_u32_e32 v10, vcc_lo, v33, v10, vcc_lo
	v_add_co_u32 v13, vcc_lo, v32, v13
	v_lshlrev_b64_e32 v[17:18], 2, v[17:18]
	ds_load_2addr_b32 v[23:24], v2 offset0:104 offset1:212
	v_add_nc_u32_e32 v3, 0x654, v3
	s_wait_alu 0xfffd
	v_add_co_ci_u32_e32 v14, vcc_lo, v33, v14, vcc_lo
	v_add_co_u32 v15, vcc_lo, v32, v15
	v_lshlrev_b64_e32 v[21:22], 2, v[21:22]
	s_wait_alu 0xfffd
	v_add_co_ci_u32_e32 v16, vcc_lo, v33, v16, vcc_lo
	v_add_co_u32 v17, vcc_lo, v32, v17
	v_lshlrev_b64_e32 v[2:3], 2, v[3:4]
	s_wait_alu 0xfffd
	v_add_co_ci_u32_e32 v18, vcc_lo, v33, v18, vcc_lo
	v_add_co_u32 v21, vcc_lo, v32, v21
	s_wait_alu 0xfffd
	v_add_co_ci_u32_e32 v22, vcc_lo, v33, v22, vcc_lo
	v_add_co_u32 v2, vcc_lo, v32, v2
	s_wait_alu 0xfffd
	v_add_co_ci_u32_e32 v3, vcc_lo, v33, v3, vcc_lo
	s_wait_dscnt 0x3
	s_clause 0x1
	global_store_b32 v[0:1], v5, off
	global_store_b32 v[7:8], v6, off
	s_wait_dscnt 0x2
	s_clause 0x1
	global_store_b32 v[9:10], v11, off
	global_store_b32 v[13:14], v12, off
	;; [unrolled: 4-line block ×4, first 2 shown]
.LBB0_31:
	s_nop 0
	s_sendmsg sendmsg(MSG_DEALLOC_VGPRS)
	s_endpgm
	.section	.rodata,"a",@progbits
	.p2align	6, 0x0
	.amdhsa_kernel fft_rtc_back_len1728_factors_3_6_6_16_wgs_108_tpt_108_halfLds_half_op_CI_CI_unitstride_sbrr_C2R_dirReg
		.amdhsa_group_segment_fixed_size 0
		.amdhsa_private_segment_fixed_size 0
		.amdhsa_kernarg_size 104
		.amdhsa_user_sgpr_count 2
		.amdhsa_user_sgpr_dispatch_ptr 0
		.amdhsa_user_sgpr_queue_ptr 0
		.amdhsa_user_sgpr_kernarg_segment_ptr 1
		.amdhsa_user_sgpr_dispatch_id 0
		.amdhsa_user_sgpr_private_segment_size 0
		.amdhsa_wavefront_size32 1
		.amdhsa_uses_dynamic_stack 0
		.amdhsa_enable_private_segment 0
		.amdhsa_system_sgpr_workgroup_id_x 1
		.amdhsa_system_sgpr_workgroup_id_y 0
		.amdhsa_system_sgpr_workgroup_id_z 0
		.amdhsa_system_sgpr_workgroup_info 0
		.amdhsa_system_vgpr_workitem_id 0
		.amdhsa_next_free_vgpr 90
		.amdhsa_next_free_sgpr 39
		.amdhsa_reserve_vcc 1
		.amdhsa_float_round_mode_32 0
		.amdhsa_float_round_mode_16_64 0
		.amdhsa_float_denorm_mode_32 3
		.amdhsa_float_denorm_mode_16_64 3
		.amdhsa_fp16_overflow 0
		.amdhsa_workgroup_processor_mode 1
		.amdhsa_memory_ordered 1
		.amdhsa_forward_progress 0
		.amdhsa_round_robin_scheduling 0
		.amdhsa_exception_fp_ieee_invalid_op 0
		.amdhsa_exception_fp_denorm_src 0
		.amdhsa_exception_fp_ieee_div_zero 0
		.amdhsa_exception_fp_ieee_overflow 0
		.amdhsa_exception_fp_ieee_underflow 0
		.amdhsa_exception_fp_ieee_inexact 0
		.amdhsa_exception_int_div_zero 0
	.end_amdhsa_kernel
	.text
.Lfunc_end0:
	.size	fft_rtc_back_len1728_factors_3_6_6_16_wgs_108_tpt_108_halfLds_half_op_CI_CI_unitstride_sbrr_C2R_dirReg, .Lfunc_end0-fft_rtc_back_len1728_factors_3_6_6_16_wgs_108_tpt_108_halfLds_half_op_CI_CI_unitstride_sbrr_C2R_dirReg
                                        ; -- End function
	.section	.AMDGPU.csdata,"",@progbits
; Kernel info:
; codeLenInByte = 11416
; NumSgprs: 41
; NumVgprs: 90
; ScratchSize: 0
; MemoryBound: 0
; FloatMode: 240
; IeeeMode: 1
; LDSByteSize: 0 bytes/workgroup (compile time only)
; SGPRBlocks: 5
; VGPRBlocks: 11
; NumSGPRsForWavesPerEU: 41
; NumVGPRsForWavesPerEU: 90
; Occupancy: 16
; WaveLimiterHint : 1
; COMPUTE_PGM_RSRC2:SCRATCH_EN: 0
; COMPUTE_PGM_RSRC2:USER_SGPR: 2
; COMPUTE_PGM_RSRC2:TRAP_HANDLER: 0
; COMPUTE_PGM_RSRC2:TGID_X_EN: 1
; COMPUTE_PGM_RSRC2:TGID_Y_EN: 0
; COMPUTE_PGM_RSRC2:TGID_Z_EN: 0
; COMPUTE_PGM_RSRC2:TIDIG_COMP_CNT: 0
	.text
	.p2alignl 7, 3214868480
	.fill 96, 4, 3214868480
	.type	__hip_cuid_3156165bc13ae94c,@object ; @__hip_cuid_3156165bc13ae94c
	.section	.bss,"aw",@nobits
	.globl	__hip_cuid_3156165bc13ae94c
__hip_cuid_3156165bc13ae94c:
	.byte	0                               ; 0x0
	.size	__hip_cuid_3156165bc13ae94c, 1

	.ident	"AMD clang version 19.0.0git (https://github.com/RadeonOpenCompute/llvm-project roc-6.4.0 25133 c7fe45cf4b819c5991fe208aaa96edf142730f1d)"
	.section	".note.GNU-stack","",@progbits
	.addrsig
	.addrsig_sym __hip_cuid_3156165bc13ae94c
	.amdgpu_metadata
---
amdhsa.kernels:
  - .args:
      - .actual_access:  read_only
        .address_space:  global
        .offset:         0
        .size:           8
        .value_kind:     global_buffer
      - .offset:         8
        .size:           8
        .value_kind:     by_value
      - .actual_access:  read_only
        .address_space:  global
        .offset:         16
        .size:           8
        .value_kind:     global_buffer
      - .actual_access:  read_only
        .address_space:  global
        .offset:         24
        .size:           8
        .value_kind:     global_buffer
      - .actual_access:  read_only
        .address_space:  global
        .offset:         32
        .size:           8
        .value_kind:     global_buffer
      - .offset:         40
        .size:           8
        .value_kind:     by_value
      - .actual_access:  read_only
        .address_space:  global
        .offset:         48
        .size:           8
        .value_kind:     global_buffer
      - .actual_access:  read_only
        .address_space:  global
        .offset:         56
        .size:           8
        .value_kind:     global_buffer
      - .offset:         64
        .size:           4
        .value_kind:     by_value
      - .actual_access:  read_only
        .address_space:  global
        .offset:         72
        .size:           8
        .value_kind:     global_buffer
      - .actual_access:  read_only
        .address_space:  global
        .offset:         80
        .size:           8
        .value_kind:     global_buffer
      - .actual_access:  read_only
        .address_space:  global
        .offset:         88
        .size:           8
        .value_kind:     global_buffer
      - .actual_access:  write_only
        .address_space:  global
        .offset:         96
        .size:           8
        .value_kind:     global_buffer
    .group_segment_fixed_size: 0
    .kernarg_segment_align: 8
    .kernarg_segment_size: 104
    .language:       OpenCL C
    .language_version:
      - 2
      - 0
    .max_flat_workgroup_size: 108
    .name:           fft_rtc_back_len1728_factors_3_6_6_16_wgs_108_tpt_108_halfLds_half_op_CI_CI_unitstride_sbrr_C2R_dirReg
    .private_segment_fixed_size: 0
    .sgpr_count:     41
    .sgpr_spill_count: 0
    .symbol:         fft_rtc_back_len1728_factors_3_6_6_16_wgs_108_tpt_108_halfLds_half_op_CI_CI_unitstride_sbrr_C2R_dirReg.kd
    .uniform_work_group_size: 1
    .uses_dynamic_stack: false
    .vgpr_count:     90
    .vgpr_spill_count: 0
    .wavefront_size: 32
    .workgroup_processor_mode: 1
amdhsa.target:   amdgcn-amd-amdhsa--gfx1201
amdhsa.version:
  - 1
  - 2
...

	.end_amdgpu_metadata
